;; amdgpu-corpus repo=ROCm/aiter kind=harvested arch=n/a opt=n/a

/root/src/amdgpu-assembly/repos/ROCm__aiter/hsa/gfx950/bf16gemm/bf16gemm_bf16_tn_256x256_bpreshuffle.co:	file format elf64-amdgpu

Disassembly of section .text:

0000000000002a00 <_ZN5aiter36bf16gemm_bf16_tn_256x256_bpreshuffleE>:
	s_mov_b32 s46, s2                                          // 000000002A00: BEAE0002
	s_mov_b32 s47, s3                                          // 000000002A04: BEAF0003
	s_mov_b32 s51, s4                                          // 000000002A08: BEB30004
	s_and_b32 s1, s1, 0xffff                                   // 000000002A0C: 8601FF01 0000FFFF
	s_load_dwordx2 s[4:5], s[0:1], 0x0                         // 000000002A14: C0060100 00000000
	s_load_dwordx2 s[8:9], s[0:1], 0x10                        // 000000002A1C: C0060200 00000010
	s_load_dwordx2 s[12:13], s[0:1], 0x20                      // 000000002A24: C0060300 00000020
	s_load_dwordx2 s[16:17], s[0:1], 0x30                      // 000000002A2C: C0060400 00000030
	s_load_dword s38, s[0:1], 0x40                             // 000000002A34: C0020980 00000040
	s_load_dword s39, s[0:1], 0x50                             // 000000002A3C: C00209C0 00000050
	s_load_dword s40, s[0:1], 0x80                             // 000000002A44: C0020A00 00000080
	s_load_dword s41, s[0:1], 0xa0                             // 000000002A4C: C0020A40 000000A0
	s_load_dword s42, s[0:1], 0xc0                             // 000000002A54: C0020A80 000000C0
	s_load_dword s43, s[0:1], 0xe0                             // 000000002A5C: C0020AC0 000000E0
	s_load_dword s44, s[0:1], 0xf0                             // 000000002A64: C0020B00 000000F0
	s_load_dword s45, s[0:1], 0x100                            // 000000002A6C: C0020B40 00000100
	s_load_dword s58, s[0:1], 0x110                            // 000000002A74: C0020E80 00000110
	s_load_dword s59, s[0:1], 0x120                            // 000000002A7C: C0020EC0 00000120
	v_lshrrev_b32_e32 v1, 10, v0                               // 000000002A84: 2002008A
	v_lshrrev_b32_e32 v2, 10, v1                               // 000000002A88: 2004028A
	v_and_b32_e32 v2, 0x3ff, v2                                // 000000002A8C: 260404FF 000003FF
	v_and_b32_e32 v1, 0x3ff, v1                                // 000000002A94: 260202FF 000003FF
	v_and_b32_e32 v0, 0x3ff, v0                                // 000000002A9C: 260000FF 000003FF
	v_lshrrev_b32_e32 v3, 6, v0                                // 000000002AA4: 20060086
	v_and_b32_e32 v0, 63, v0                                   // 000000002AA8: 260000BF
	v_readfirstlane_b32 s48, v3                                // 000000002AAC: 7E600503
	s_waitcnt lgkmcnt(0)                                       // 000000002AB0: BF8CC07F
	s_add_u32 s51, s44, 0xff                                   // 000000002AB4: 8033FF2C 000000FF
	s_lshr_b32 s51, s51, 8                                     // 000000002ABC: 8F338833
	s_mul_i32 s54, s51, s47                                    // 000000002AC0: 92362F33
	s_add_i32 s54, s54, s46                                    // 000000002AC4: 81362E36
	s_lshr_b32 s55, s51, 5                                     // 000000002AC8: 8F378533
	s_lshl_b32 s55, s55, 5                                     // 000000002ACC: 8E378537
	s_sub_i32 s56, s51, s55                                    // 000000002AD0: 81B83733
	s_add_u32 s53, s43, 0xff                                   // 000000002AD4: 8035FF2B 000000FF
	s_lshr_b32 s53, s53, 8                                     // 000000002ADC: 8F358835
	s_mul_i32 s57, s55, s53                                    // 000000002AE0: 92393537
	s_cmp_lt_i32 s54, s57                                      // 000000002AE4: BF043936
	s_cbranch_scc0 label_0060                                  // 000000002AE8: BF840025
	s_lshr_b32 s51, s54, 5                                     // 000000002AEC: 8F338536
	v_cvt_f32_u32_e32 v4, s53                                  // 000000002AF0: 7E080C35
	s_sub_i32 s52, 0, s53                                      // 000000002AF4: 81B43580
	v_rcp_iflag_f32_e32 v4, v4                                 // 000000002AF8: 7E084704
	s_nop 0                                                    // 000000002AFC: BF800000
	v_mul_f32_e32 v4, 0x4f7ffffe, v4                           // 000000002B00: 0A0808FF 4F7FFFFE
	v_cvt_u32_f32_e32 v4, v4                                   // 000000002B08: 7E080F04
	v_mul_lo_u32 v5, s52, v4                                   // 000000002B0C: D2850005 00020834
	v_mul_hi_u32 v5, v4, v5                                    // 000000002B14: D2860005 00020B04
	v_add_u32_e32 v4, v4, v5                                   // 000000002B1C: 68080B04
	v_mul_hi_u32 v4, s51, v4                                   // 000000002B20: D2860004 00020833
	v_mul_lo_u32 v5, v4, s53                                   // 000000002B28: D2850005 00006B04
	v_sub_u32_e32 v7, s51, v5                                  // 000000002B30: 6A0E0A33
	v_add_u32_e32 v6, 1, v4                                    // 000000002B34: 680C0881
	v_cmp_le_u32_e32 vcc, s53, v7                              // 000000002B38: 7D960E35
	v_subrev_u32_e32 v5, s53, v7                               // 000000002B3C: 6C0A0E35
	s_nop 0                                                    // 000000002B40: BF800000
	v_cndmask_b32_e32 v4, v4, v6, vcc                          // 000000002B44: 00080D04
	v_cndmask_b32_e32 v7, v7, v5, vcc                          // 000000002B48: 000E0B07
	v_add_u32_e32 v5, 1, v4                                    // 000000002B4C: 680A0881
	v_cmp_le_u32_e32 vcc, s53, v7                              // 000000002B50: 7D960E35
	s_nop 1                                                    // 000000002B54: BF800001
	v_cndmask_b32_e32 v7, v4, v5, vcc                          // 000000002B58: 000E0B04
	s_nop 3                                                    // 000000002B5C: BF800003
	v_readfirstlane_b32 s52, v7                                // 000000002B60: 7E680507
	s_nop 3                                                    // 000000002B64: BF800003
	s_mul_i32 s47, s53, s52                                    // 000000002B68: 922F3435
	s_sub_i32 s47, s51, s47                                    // 000000002B6C: 81AF2F33
	s_and_b32 s51, s54, 31                                     // 000000002B70: 86339F36
	s_lshl_b32 s46, s52, 5                                     // 000000002B74: 8E2E8534
	s_add_i32 s46, s46, s51                                    // 000000002B78: 812E332E
	s_branch label_0082                                        // 000000002B7C: BF820022

0000000000002b80 <label_0060>:
	s_sub_i32 s51, s54, s57                                    // 000000002B80: 81B33936
	v_cvt_f32_u32_e32 v4, s56                                  // 000000002B84: 7E080C38
	s_sub_i32 s47, 0, s56                                      // 000000002B88: 81AF3880
	v_rcp_iflag_f32_e32 v4, v4                                 // 000000002B8C: 7E084704
	s_nop 0                                                    // 000000002B90: BF800000
	v_mul_f32_e32 v4, 0x4f7ffffe, v4                           // 000000002B94: 0A0808FF 4F7FFFFE
	v_cvt_u32_f32_e32 v4, v4                                   // 000000002B9C: 7E080F04
	v_mul_lo_u32 v5, s47, v4                                   // 000000002BA0: D2850005 0002082F
	v_mul_hi_u32 v5, v4, v5                                    // 000000002BA8: D2860005 00020B04
	v_add_u32_e32 v4, v4, v5                                   // 000000002BB0: 68080B04
	v_mul_hi_u32 v4, s51, v4                                   // 000000002BB4: D2860004 00020833
	v_mul_lo_u32 v5, v4, s56                                   // 000000002BBC: D2850005 00007104
	v_sub_u32_e32 v7, s51, v5                                  // 000000002BC4: 6A0E0A33
	v_add_u32_e32 v6, 1, v4                                    // 000000002BC8: 680C0881
	v_cmp_le_u32_e32 vcc, s56, v7                              // 000000002BCC: 7D960E38
	v_subrev_u32_e32 v5, s56, v7                               // 000000002BD0: 6C0A0E38
	s_nop 0                                                    // 000000002BD4: BF800000
	v_cndmask_b32_e32 v4, v4, v6, vcc                          // 000000002BD8: 00080D04
	v_cndmask_b32_e32 v7, v7, v5, vcc                          // 000000002BDC: 000E0B07
	v_add_u32_e32 v5, 1, v4                                    // 000000002BE0: 680A0881
	v_cmp_le_u32_e32 vcc, s56, v7                              // 000000002BE4: 7D960E38
	s_nop 1                                                    // 000000002BE8: BF800001
	v_cndmask_b32_e32 v7, v4, v5, vcc                          // 000000002BEC: 000E0B04
	s_nop 3                                                    // 000000002BF0: BF800003
	v_readfirstlane_b32 s47, v7                                // 000000002BF4: 7E5E0507
	s_nop 3                                                    // 000000002BF8: BF800003
	s_mul_i32 s52, s56, s47                                    // 000000002BFC: 92342F38
	s_sub_i32 s46, s51, s52                                    // 000000002C00: 81AE3433
	s_add_i32 s46, s55, s46                                    // 000000002C04: 812E2E37

0000000000002c08 <label_0082>:
	s_mov_b32 s6, -16                                          // 000000002C08: BE8600D0
	s_mov_b32 s10, -16                                         // 000000002C0C: BE8A00D0
	s_mov_b32 s18, -16                                         // 000000002C10: BE9200D0
	s_mov_b32 s14, -16                                         // 000000002C14: BE8E00D0
	s_mov_b32 s7, 0x20000                                      // 000000002C18: BE8700FF 00020000
	s_mov_b32 s11, 0x20000                                     // 000000002C20: BE8B00FF 00020000
	s_mov_b32 s19, 0x20000                                     // 000000002C28: BE9300FF 00020000
	s_mov_b32 s15, 0x20000                                     // 000000002C30: BE8F00FF 00020000
	s_and_b32 s5, s5, 0xffff                                   // 000000002C38: 8605FF05 0000FFFF
	s_and_b32 s9, s9, 0xffff                                   // 000000002C40: 8609FF09 0000FFFF
	s_and_b32 s17, s17, 0xffff                                 // 000000002C48: 8611FF11 0000FFFF
	s_and_b32 s13, s13, 0xffff                                 // 000000002C50: 860DFF0D 0000FFFF
	s_or_b32 s5, s5, 0x40000                                   // 000000002C58: 8705FF05 00040000
	s_or_b32 s9, s9, 0x40000                                   // 000000002C60: 8709FF09 00040000
	s_or_b32 s17, s17, 0x40000                                 // 000000002C68: 8711FF11 00040000
	s_or_b32 s13, s13, 0x40000                                 // 000000002C70: 870DFF0D 00040000
	s_mul_i32 s51, s41, s43                                    // 000000002C78: 92332B29
	s_mov_b32 s14, s51                                         // 000000002C7C: BE8E0033
	s_mul_i32 s51, s42, s44                                    // 000000002C80: 92332C2A
	s_mov_b32 s18, s51                                         // 000000002C84: BE920033
	v_lshrrev_b32_e32 v4, 3, v0                                // 000000002C88: 20080083
	v_lshrrev_b32_e32 v5, 2, v4                                // 000000002C8C: 200A0882
	v_lshlrev_b32_e32 v5, 4, v5                                // 000000002C90: 240A0A84
	v_and_b32_e32 v4, 3, v4                                    // 000000002C94: 26080883
	v_lshrrev_b32_e32 v6, 1, v4                                // 000000002C98: 200C0881
	v_lshlrev_b32_e32 v6, 2, v6                                // 000000002C9C: 240C0C82
	v_add_u32_e32 v5, v5, v6                                   // 000000002CA0: 680A0D05
	v_and_b32_e32 v4, 1, v4                                    // 000000002CA4: 26080881
	v_add_u32_e32 v5, v5, v4                                   // 000000002CA8: 680A0905
	v_mul_lo_u32 v200, s41, v5                                 // 000000002CAC: D28500C8 00020A29
	v_and_b32_e32 v4, 7, v0                                    // 000000002CB4: 26080087
	v_lshlrev_b32_e32 v4, 4, v4                                // 000000002CB8: 24080884
	v_add_u32_e32 v200, v200, v4                               // 000000002CBC: 699009C8
	s_lshr_b32 s51, s48, 1                                     // 000000002CC0: 8F338130
	s_mul_i32 s51, s51, 8                                      // 000000002CC4: 92338833
	s_and_b32 s52, s48, 1                                      // 000000002CC8: 86348130
	s_mul_i32 s52, s52, 2                                      // 000000002CCC: 92348234
	s_add_u32 s51, s51, s52                                    // 000000002CD0: 80333433
	s_mul_i32 s52, s47, 0x100                                  // 000000002CD4: 9234FF2F 00000100
	s_add_u32 s52, s51, s52                                    // 000000002CDC: 80343433
	s_mul_i32 s52, s41, s52                                    // 000000002CE0: 92343429
	v_add_u32_e32 v200, s52, v200                              // 000000002CE4: 69919034
	s_mul_i32 s51, s41, 32                                     // 000000002CE8: 9233A029
	v_add_u32_e32 v201, s51, v200                              // 000000002CEC: 69939033
	v_add_u32_e32 v202, s51, v201                              // 000000002CF0: 69959233
	v_add_u32_e32 v203, s51, v202                              // 000000002CF4: 69979433
	v_add_u32_e32 v204, s51, v203                              // 000000002CF8: 69999633
	v_add_u32_e32 v205, s51, v204                              // 000000002CFC: 699B9833
	v_add_u32_e32 v206, s51, v205                              // 000000002D00: 699D9A33
	v_add_u32_e32 v207, s51, v206                              // 000000002D04: 699F9C33
	s_mul_i32 s60, 0x420, s48                                  // 000000002D08: 923C30FF 00000420
	s_add_u32 s60, 0, s60                                      // 000000002D10: 803C3C80
	v_and_b32_e32 v4, 15, v0                                   // 000000002D14: 2608008F
	v_lshrrev_b32_e32 v5, 3, v4                                // 000000002D18: 200A0883
	v_mul_i32_i24_e32 v5, 2, v5                                // 000000002D1C: 0C0A0A82
	v_and_b32_e32 v4, 3, v0                                    // 000000002D20: 26080083
	v_lshrrev_b32_e32 v6, 1, v4                                // 000000002D24: 200C0881
	v_add_u32_e32 v4, v5, v6                                   // 000000002D28: 68080D05
	v_mul_i32_i24_e32 v208, 0x420, v4                          // 000000002D2C: 0DA008FF 00000420
	v_and_b32_e32 v4, 7, v0                                    // 000000002D34: 26080087
	v_lshrrev_b32_e32 v5, 2, v4                                // 000000002D38: 200A0882
	v_mul_i32_i24_e32 v5, 0x100, v5                            // 000000002D3C: 0C0A0AFF 00000100
	v_add_u32_e32 v208, v5, v208                               // 000000002D44: 69A1A105
	v_and_b32_e32 v4, 1, v0                                    // 000000002D48: 26080081
	v_mul_i32_i24_e32 v6, 0x80, v4                             // 000000002D4C: 0C0C08FF 00000080
	v_add_u32_e32 v208, v6, v208                               // 000000002D54: 69A1A106
	v_lshrrev_b32_e32 v4, 4, v0                                // 000000002D58: 20080084
	v_mul_i32_i24_e32 v4, 16, v4                               // 000000002D5C: 0C080890
	v_add_u32_e32 v4, 0, v4                                    // 000000002D60: 68080880
	v_add_u32_e32 v208, v4, v208                               // 000000002D64: 69A1A104
	v_add_u32_e32 v209, 0x8400, v208                           // 000000002D68: 69A3A0FF 00008400
	s_lshl_b32 s51, s46, 8                                     // 000000002D70: 8E33882E
	s_lshl_b32 s52, s48, 6                                     // 000000002D74: 8E348630
	s_add_i32 s51, s51, s52                                    // 000000002D78: 81333433
	s_mul_i32 s51, s51, s42                                    // 000000002D7C: 92332A33
	v_lshlrev_b32_e32 v210, 4, v0                              // 000000002D80: 25A40084
	v_add_u32_e32 v210, s51, v210                              // 000000002D84: 69A5A433
	s_lshl_b32 s51, s42, 4                                     // 000000002D88: 8E33842A
	v_add_u32_e32 v211, s51, v210                              // 000000002D8C: 69A7A433
	v_add_u32_e32 v212, s51, v211                              // 000000002D90: 69A9A633
	v_add_u32_e32 v213, s51, v212                              // 000000002D94: 69ABA833
	v_add_u32_e32 v214, 0x400, v210                            // 000000002D98: 69ADA4FF 00000400
	v_add_u32_e32 v215, 0x400, v211                            // 000000002DA0: 69AFA6FF 00000400
	v_add_u32_e32 v216, 0x400, v212                            // 000000002DA8: 69B1A8FF 00000400
	v_add_u32_e32 v217, 0x400, v213                            // 000000002DB0: 69B3AAFF 00000400
	s_mov_b32 s62, 0x80                                        // 000000002DB8: BEBE00FF 00000080
	s_mov_b32 s63, 0x800                                       // 000000002DC0: BEBF00FF 00000800
	s_add_u32 m0, 0, s60                                       // 000000002DC8: 807C3C80
	buffer_load_dwordx4 v200, s[12:15], 0 offen lds            // 000000002DCC: E05D1000 800300C8
	v_accvgpr_write_b32 a0, 0                                  // 000000002DD4: D3D94000 18000080
	v_accvgpr_write_b32 a1, 0                                  // 000000002DDC: D3D94001 18000080
	v_accvgpr_write_b32 a2, 0                                  // 000000002DE4: D3D94002 18000080
	v_accvgpr_write_b32 a3, 0                                  // 000000002DEC: D3D94003 18000080
	v_accvgpr_write_b32 a4, 0                                  // 000000002DF4: D3D94004 18000080
	v_accvgpr_write_b32 a5, 0                                  // 000000002DFC: D3D94005 18000080
	v_accvgpr_write_b32 a6, 0                                  // 000000002E04: D3D94006 18000080
	v_accvgpr_write_b32 a7, 0                                  // 000000002E0C: D3D94007 18000080
	s_add_u32 m0, 0x1080, s60                                  // 000000002E14: 807C3CFF 00001080
	buffer_load_dwordx4 v201, s[12:15], 0 offen lds            // 000000002E1C: E05D1000 800300C9
	v_accvgpr_write_b32 a8, 0                                  // 000000002E24: D3D94008 18000080
	v_accvgpr_write_b32 a9, 0                                  // 000000002E2C: D3D94009 18000080
	v_accvgpr_write_b32 a10, 0                                 // 000000002E34: D3D9400A 18000080
	v_accvgpr_write_b32 a11, 0                                 // 000000002E3C: D3D9400B 18000080
	v_accvgpr_write_b32 a12, 0                                 // 000000002E44: D3D9400C 18000080
	v_accvgpr_write_b32 a13, 0                                 // 000000002E4C: D3D9400D 18000080
	v_accvgpr_write_b32 a14, 0                                 // 000000002E54: D3D9400E 18000080
	v_accvgpr_write_b32 a15, 0                                 // 000000002E5C: D3D9400F 18000080
	s_add_u32 m0, 0x2100, s60                                  // 000000002E64: 807C3CFF 00002100
	buffer_load_dwordx4 v202, s[12:15], 0 offen lds            // 000000002E6C: E05D1000 800300CA
	v_accvgpr_write_b32 a16, 0                                 // 000000002E74: D3D94010 18000080
	v_accvgpr_write_b32 a17, 0                                 // 000000002E7C: D3D94011 18000080
	v_accvgpr_write_b32 a18, 0                                 // 000000002E84: D3D94012 18000080
	v_accvgpr_write_b32 a19, 0                                 // 000000002E8C: D3D94013 18000080
	v_accvgpr_write_b32 a20, 0                                 // 000000002E94: D3D94014 18000080
	v_accvgpr_write_b32 a21, 0                                 // 000000002E9C: D3D94015 18000080
	v_accvgpr_write_b32 a22, 0                                 // 000000002EA4: D3D94016 18000080
	v_accvgpr_write_b32 a23, 0                                 // 000000002EAC: D3D94017 18000080
	s_add_u32 m0, 0x3180, s60                                  // 000000002EB4: 807C3CFF 00003180
	buffer_load_dwordx4 v203, s[12:15], 0 offen lds            // 000000002EBC: E05D1000 800300CB
	v_accvgpr_write_b32 a24, 0                                 // 000000002EC4: D3D94018 18000080
	v_accvgpr_write_b32 a25, 0                                 // 000000002ECC: D3D94019 18000080
	v_accvgpr_write_b32 a26, 0                                 // 000000002ED4: D3D9401A 18000080
	v_accvgpr_write_b32 a27, 0                                 // 000000002EDC: D3D9401B 18000080
	v_accvgpr_write_b32 a28, 0                                 // 000000002EE4: D3D9401C 18000080
	v_accvgpr_write_b32 a29, 0                                 // 000000002EEC: D3D9401D 18000080
	v_accvgpr_write_b32 a30, 0                                 // 000000002EF4: D3D9401E 18000080
	v_accvgpr_write_b32 a31, 0                                 // 000000002EFC: D3D9401F 18000080
	s_add_u32 m0, 0x4200, s60                                  // 000000002F04: 807C3CFF 00004200
	buffer_load_dwordx4 v204, s[12:15], 0 offen lds            // 000000002F0C: E05D1000 800300CC
	v_accvgpr_write_b32 a32, 0                                 // 000000002F14: D3D94020 18000080
	v_accvgpr_write_b32 a33, 0                                 // 000000002F1C: D3D94021 18000080
	v_accvgpr_write_b32 a34, 0                                 // 000000002F24: D3D94022 18000080
	v_accvgpr_write_b32 a35, 0                                 // 000000002F2C: D3D94023 18000080
	v_accvgpr_write_b32 a36, 0                                 // 000000002F34: D3D94024 18000080
	v_accvgpr_write_b32 a37, 0                                 // 000000002F3C: D3D94025 18000080
	v_accvgpr_write_b32 a38, 0                                 // 000000002F44: D3D94026 18000080
	v_accvgpr_write_b32 a39, 0                                 // 000000002F4C: D3D94027 18000080
	s_add_u32 m0, 0x5280, s60                                  // 000000002F54: 807C3CFF 00005280
	buffer_load_dwordx4 v205, s[12:15], 0 offen lds            // 000000002F5C: E05D1000 800300CD
	v_accvgpr_write_b32 a40, 0                                 // 000000002F64: D3D94028 18000080
	v_accvgpr_write_b32 a41, 0                                 // 000000002F6C: D3D94029 18000080
	v_accvgpr_write_b32 a42, 0                                 // 000000002F74: D3D9402A 18000080
	v_accvgpr_write_b32 a43, 0                                 // 000000002F7C: D3D9402B 18000080
	v_accvgpr_write_b32 a44, 0                                 // 000000002F84: D3D9402C 18000080
	v_accvgpr_write_b32 a45, 0                                 // 000000002F8C: D3D9402D 18000080
	v_accvgpr_write_b32 a46, 0                                 // 000000002F94: D3D9402E 18000080
	v_accvgpr_write_b32 a47, 0                                 // 000000002F9C: D3D9402F 18000080
	s_add_u32 m0, 0x6300, s60                                  // 000000002FA4: 807C3CFF 00006300
	buffer_load_dwordx4 v206, s[12:15], 0 offen lds            // 000000002FAC: E05D1000 800300CE
	v_accvgpr_write_b32 a48, 0                                 // 000000002FB4: D3D94030 18000080
	v_accvgpr_write_b32 a49, 0                                 // 000000002FBC: D3D94031 18000080
	v_accvgpr_write_b32 a50, 0                                 // 000000002FC4: D3D94032 18000080
	v_accvgpr_write_b32 a51, 0                                 // 000000002FCC: D3D94033 18000080
	v_accvgpr_write_b32 a52, 0                                 // 000000002FD4: D3D94034 18000080
	v_accvgpr_write_b32 a53, 0                                 // 000000002FDC: D3D94035 18000080
	v_accvgpr_write_b32 a54, 0                                 // 000000002FE4: D3D94036 18000080
	v_accvgpr_write_b32 a55, 0                                 // 000000002FEC: D3D94037 18000080
	s_add_u32 m0, 0x7380, s60                                  // 000000002FF4: 807C3CFF 00007380
	buffer_load_dwordx4 v207, s[12:15], 0 offen lds            // 000000002FFC: E05D1000 800300CF
	v_accvgpr_write_b32 a56, 0                                 // 000000003004: D3D94038 18000080
	v_accvgpr_write_b32 a57, 0                                 // 00000000300C: D3D94039 18000080
	v_accvgpr_write_b32 a58, 0                                 // 000000003014: D3D9403A 18000080
	v_accvgpr_write_b32 a59, 0                                 // 00000000301C: D3D9403B 18000080
	v_accvgpr_write_b32 a60, 0                                 // 000000003024: D3D9403C 18000080
	v_accvgpr_write_b32 a61, 0                                 // 00000000302C: D3D9403D 18000080
	v_accvgpr_write_b32 a62, 0                                 // 000000003034: D3D9403E 18000080
	v_accvgpr_write_b32 a63, 0                                 // 00000000303C: D3D9403F 18000080
	s_add_u32 s12, s62, s12                                    // 000000003044: 800C0C3E
	s_addc_u32 s13, 0, s13                                     // 000000003048: 820D0D80
	s_sub_u32 s14, s14, s62                                    // 00000000304C: 808E3E0E
	buffer_load_dwordx4 v[136:139], v210, s[16:19], 0 offen    // 000000003050: E05C1000 800488D2
	v_accvgpr_write_b32 a64, 0                                 // 000000003058: D3D94040 18000080
	v_accvgpr_write_b32 a65, 0                                 // 000000003060: D3D94041 18000080
	v_accvgpr_write_b32 a66, 0                                 // 000000003068: D3D94042 18000080
	v_accvgpr_write_b32 a67, 0                                 // 000000003070: D3D94043 18000080
	v_accvgpr_write_b32 a68, 0                                 // 000000003078: D3D94044 18000080
	v_accvgpr_write_b32 a69, 0                                 // 000000003080: D3D94045 18000080
	v_accvgpr_write_b32 a70, 0                                 // 000000003088: D3D94046 18000080
	v_accvgpr_write_b32 a71, 0                                 // 000000003090: D3D94047 18000080
	buffer_load_dwordx4 v[140:143], v211, s[16:19], 0 offen    // 000000003098: E05C1000 80048CD3
	v_accvgpr_write_b32 a72, 0                                 // 0000000030A0: D3D94048 18000080
	v_accvgpr_write_b32 a73, 0                                 // 0000000030A8: D3D94049 18000080
	v_accvgpr_write_b32 a74, 0                                 // 0000000030B0: D3D9404A 18000080
	v_accvgpr_write_b32 a75, 0                                 // 0000000030B8: D3D9404B 18000080
	v_accvgpr_write_b32 a76, 0                                 // 0000000030C0: D3D9404C 18000080
	v_accvgpr_write_b32 a77, 0                                 // 0000000030C8: D3D9404D 18000080
	v_accvgpr_write_b32 a78, 0                                 // 0000000030D0: D3D9404E 18000080
	v_accvgpr_write_b32 a79, 0                                 // 0000000030D8: D3D9404F 18000080
	buffer_load_dwordx4 v[144:147], v212, s[16:19], 0 offen    // 0000000030E0: E05C1000 800490D4
	v_accvgpr_write_b32 a80, 0                                 // 0000000030E8: D3D94050 18000080
	v_accvgpr_write_b32 a81, 0                                 // 0000000030F0: D3D94051 18000080
	v_accvgpr_write_b32 a82, 0                                 // 0000000030F8: D3D94052 18000080
	v_accvgpr_write_b32 a83, 0                                 // 000000003100: D3D94053 18000080
	v_accvgpr_write_b32 a84, 0                                 // 000000003108: D3D94054 18000080
	v_accvgpr_write_b32 a85, 0                                 // 000000003110: D3D94055 18000080
	v_accvgpr_write_b32 a86, 0                                 // 000000003118: D3D94056 18000080
	v_accvgpr_write_b32 a87, 0                                 // 000000003120: D3D94057 18000080
	buffer_load_dwordx4 v[148:151], v213, s[16:19], 0 offen    // 000000003128: E05C1000 800494D5
	v_accvgpr_write_b32 a88, 0                                 // 000000003130: D3D94058 18000080
	v_accvgpr_write_b32 a89, 0                                 // 000000003138: D3D94059 18000080
	v_accvgpr_write_b32 a90, 0                                 // 000000003140: D3D9405A 18000080
	v_accvgpr_write_b32 a91, 0                                 // 000000003148: D3D9405B 18000080
	v_accvgpr_write_b32 a92, 0                                 // 000000003150: D3D9405C 18000080
	v_accvgpr_write_b32 a93, 0                                 // 000000003158: D3D9405D 18000080
	v_accvgpr_write_b32 a94, 0                                 // 000000003160: D3D9405E 18000080
	v_accvgpr_write_b32 a95, 0                                 // 000000003168: D3D9405F 18000080
	buffer_load_dwordx4 v[152:155], v214, s[16:19], 0 offen    // 000000003170: E05C1000 800498D6
	v_accvgpr_write_b32 a96, 0                                 // 000000003178: D3D94060 18000080
	v_accvgpr_write_b32 a97, 0                                 // 000000003180: D3D94061 18000080
	v_accvgpr_write_b32 a98, 0                                 // 000000003188: D3D94062 18000080
	v_accvgpr_write_b32 a99, 0                                 // 000000003190: D3D94063 18000080
	v_accvgpr_write_b32 a100, 0                                // 000000003198: D3D94064 18000080
	v_accvgpr_write_b32 a101, 0                                // 0000000031A0: D3D94065 18000080
	v_accvgpr_write_b32 a102, 0                                // 0000000031A8: D3D94066 18000080
	v_accvgpr_write_b32 a103, 0                                // 0000000031B0: D3D94067 18000080
	buffer_load_dwordx4 v[156:159], v215, s[16:19], 0 offen    // 0000000031B8: E05C1000 80049CD7
	v_accvgpr_write_b32 a104, 0                                // 0000000031C0: D3D94068 18000080
	v_accvgpr_write_b32 a105, 0                                // 0000000031C8: D3D94069 18000080
	v_accvgpr_write_b32 a106, 0                                // 0000000031D0: D3D9406A 18000080
	v_accvgpr_write_b32 a107, 0                                // 0000000031D8: D3D9406B 18000080
	v_accvgpr_write_b32 a108, 0                                // 0000000031E0: D3D9406C 18000080
	v_accvgpr_write_b32 a109, 0                                // 0000000031E8: D3D9406D 18000080
	v_accvgpr_write_b32 a110, 0                                // 0000000031F0: D3D9406E 18000080
	v_accvgpr_write_b32 a111, 0                                // 0000000031F8: D3D9406F 18000080
	buffer_load_dwordx4 v[160:163], v216, s[16:19], 0 offen    // 000000003200: E05C1000 8004A0D8
	v_accvgpr_write_b32 a112, 0                                // 000000003208: D3D94070 18000080
	v_accvgpr_write_b32 a113, 0                                // 000000003210: D3D94071 18000080
	v_accvgpr_write_b32 a114, 0                                // 000000003218: D3D94072 18000080
	v_accvgpr_write_b32 a115, 0                                // 000000003220: D3D94073 18000080
	v_accvgpr_write_b32 a116, 0                                // 000000003228: D3D94074 18000080
	v_accvgpr_write_b32 a117, 0                                // 000000003230: D3D94075 18000080
	v_accvgpr_write_b32 a118, 0                                // 000000003238: D3D94076 18000080
	v_accvgpr_write_b32 a119, 0                                // 000000003240: D3D94077 18000080
	buffer_load_dwordx4 v[164:167], v217, s[16:19], 0 offen    // 000000003248: E05C1000 8004A4D9
	v_accvgpr_write_b32 a120, 0                                // 000000003250: D3D94078 18000080
	v_accvgpr_write_b32 a121, 0                                // 000000003258: D3D94079 18000080
	v_accvgpr_write_b32 a122, 0                                // 000000003260: D3D9407A 18000080
	v_accvgpr_write_b32 a123, 0                                // 000000003268: D3D9407B 18000080
	v_accvgpr_write_b32 a124, 0                                // 000000003270: D3D9407C 18000080
	v_accvgpr_write_b32 a125, 0                                // 000000003278: D3D9407D 18000080
	v_accvgpr_write_b32 a126, 0                                // 000000003280: D3D9407E 18000080
	v_accvgpr_write_b32 a127, 0                                // 000000003288: D3D9407F 18000080
	s_add_u32 s16, s63, s16                                    // 000000003290: 8010103F
	s_addc_u32 s17, 0, s17                                     // 000000003294: 82111180
	s_sub_u32 s18, s18, s63                                    // 000000003298: 80923F12
	v_accvgpr_write_b32 a128, 0                                // 00000000329C: D3D94080 18000080
	v_accvgpr_write_b32 a129, 0                                // 0000000032A4: D3D94081 18000080
	v_accvgpr_write_b32 a130, 0                                // 0000000032AC: D3D94082 18000080
	v_accvgpr_write_b32 a131, 0                                // 0000000032B4: D3D94083 18000080
	v_accvgpr_write_b32 a132, 0                                // 0000000032BC: D3D94084 18000080
	v_accvgpr_write_b32 a133, 0                                // 0000000032C4: D3D94085 18000080
	v_accvgpr_write_b32 a134, 0                                // 0000000032CC: D3D94086 18000080
	v_accvgpr_write_b32 a135, 0                                // 0000000032D4: D3D94087 18000080
	s_add_u32 m0, 0x8400, s60                                  // 0000000032DC: 807C3CFF 00008400
	buffer_load_dwordx4 v200, s[12:15], 0 offen lds            // 0000000032E4: E05D1000 800300C8
	v_accvgpr_write_b32 a136, 0                                // 0000000032EC: D3D94088 18000080
	v_accvgpr_write_b32 a137, 0                                // 0000000032F4: D3D94089 18000080
	v_accvgpr_write_b32 a138, 0                                // 0000000032FC: D3D9408A 18000080
	v_accvgpr_write_b32 a139, 0                                // 000000003304: D3D9408B 18000080
	v_accvgpr_write_b32 a140, 0                                // 00000000330C: D3D9408C 18000080
	v_accvgpr_write_b32 a141, 0                                // 000000003314: D3D9408D 18000080
	v_accvgpr_write_b32 a142, 0                                // 00000000331C: D3D9408E 18000080
	v_accvgpr_write_b32 a143, 0                                // 000000003324: D3D9408F 18000080
	s_add_u32 m0, 0x9480, s60                                  // 00000000332C: 807C3CFF 00009480
	buffer_load_dwordx4 v201, s[12:15], 0 offen lds            // 000000003334: E05D1000 800300C9
	v_accvgpr_write_b32 a144, 0                                // 00000000333C: D3D94090 18000080
	v_accvgpr_write_b32 a145, 0                                // 000000003344: D3D94091 18000080
	v_accvgpr_write_b32 a146, 0                                // 00000000334C: D3D94092 18000080
	v_accvgpr_write_b32 a147, 0                                // 000000003354: D3D94093 18000080
	v_accvgpr_write_b32 a148, 0                                // 00000000335C: D3D94094 18000080
	v_accvgpr_write_b32 a149, 0                                // 000000003364: D3D94095 18000080
	v_accvgpr_write_b32 a150, 0                                // 00000000336C: D3D94096 18000080
	v_accvgpr_write_b32 a151, 0                                // 000000003374: D3D94097 18000080
	s_add_u32 m0, 0xa500, s60                                  // 00000000337C: 807C3CFF 0000A500
	buffer_load_dwordx4 v202, s[12:15], 0 offen lds            // 000000003384: E05D1000 800300CA
	v_accvgpr_write_b32 a152, 0                                // 00000000338C: D3D94098 18000080
	v_accvgpr_write_b32 a153, 0                                // 000000003394: D3D94099 18000080
	v_accvgpr_write_b32 a154, 0                                // 00000000339C: D3D9409A 18000080
	v_accvgpr_write_b32 a155, 0                                // 0000000033A4: D3D9409B 18000080
	v_accvgpr_write_b32 a156, 0                                // 0000000033AC: D3D9409C 18000080
	v_accvgpr_write_b32 a157, 0                                // 0000000033B4: D3D9409D 18000080
	v_accvgpr_write_b32 a158, 0                                // 0000000033BC: D3D9409E 18000080
	v_accvgpr_write_b32 a159, 0                                // 0000000033C4: D3D9409F 18000080
	s_add_u32 m0, 0xb580, s60                                  // 0000000033CC: 807C3CFF 0000B580
	buffer_load_dwordx4 v203, s[12:15], 0 offen lds            // 0000000033D4: E05D1000 800300CB
	v_accvgpr_write_b32 a160, 0                                // 0000000033DC: D3D940A0 18000080
	v_accvgpr_write_b32 a161, 0                                // 0000000033E4: D3D940A1 18000080
	v_accvgpr_write_b32 a162, 0                                // 0000000033EC: D3D940A2 18000080
	v_accvgpr_write_b32 a163, 0                                // 0000000033F4: D3D940A3 18000080
	v_accvgpr_write_b32 a164, 0                                // 0000000033FC: D3D940A4 18000080
	v_accvgpr_write_b32 a165, 0                                // 000000003404: D3D940A5 18000080
	v_accvgpr_write_b32 a166, 0                                // 00000000340C: D3D940A6 18000080
	v_accvgpr_write_b32 a167, 0                                // 000000003414: D3D940A7 18000080
	s_add_u32 m0, 0xc600, s60                                  // 00000000341C: 807C3CFF 0000C600
	buffer_load_dwordx4 v204, s[12:15], 0 offen lds            // 000000003424: E05D1000 800300CC
	v_accvgpr_write_b32 a168, 0                                // 00000000342C: D3D940A8 18000080
	v_accvgpr_write_b32 a169, 0                                // 000000003434: D3D940A9 18000080
	v_accvgpr_write_b32 a170, 0                                // 00000000343C: D3D940AA 18000080
	v_accvgpr_write_b32 a171, 0                                // 000000003444: D3D940AB 18000080
	v_accvgpr_write_b32 a172, 0                                // 00000000344C: D3D940AC 18000080
	v_accvgpr_write_b32 a173, 0                                // 000000003454: D3D940AD 18000080
	v_accvgpr_write_b32 a174, 0                                // 00000000345C: D3D940AE 18000080
	v_accvgpr_write_b32 a175, 0                                // 000000003464: D3D940AF 18000080
	s_add_u32 m0, 0xd680, s60                                  // 00000000346C: 807C3CFF 0000D680
	buffer_load_dwordx4 v205, s[12:15], 0 offen lds            // 000000003474: E05D1000 800300CD
	v_accvgpr_write_b32 a176, 0                                // 00000000347C: D3D940B0 18000080
	v_accvgpr_write_b32 a177, 0                                // 000000003484: D3D940B1 18000080
	v_accvgpr_write_b32 a178, 0                                // 00000000348C: D3D940B2 18000080
	v_accvgpr_write_b32 a179, 0                                // 000000003494: D3D940B3 18000080
	v_accvgpr_write_b32 a180, 0                                // 00000000349C: D3D940B4 18000080
	v_accvgpr_write_b32 a181, 0                                // 0000000034A4: D3D940B5 18000080
	v_accvgpr_write_b32 a182, 0                                // 0000000034AC: D3D940B6 18000080
	v_accvgpr_write_b32 a183, 0                                // 0000000034B4: D3D940B7 18000080
	s_add_u32 m0, 0xe700, s60                                  // 0000000034BC: 807C3CFF 0000E700
	buffer_load_dwordx4 v206, s[12:15], 0 offen lds            // 0000000034C4: E05D1000 800300CE
	v_accvgpr_write_b32 a184, 0                                // 0000000034CC: D3D940B8 18000080
	v_accvgpr_write_b32 a185, 0                                // 0000000034D4: D3D940B9 18000080
	v_accvgpr_write_b32 a186, 0                                // 0000000034DC: D3D940BA 18000080
	v_accvgpr_write_b32 a187, 0                                // 0000000034E4: D3D940BB 18000080
	v_accvgpr_write_b32 a188, 0                                // 0000000034EC: D3D940BC 18000080
	v_accvgpr_write_b32 a189, 0                                // 0000000034F4: D3D940BD 18000080
	v_accvgpr_write_b32 a190, 0                                // 0000000034FC: D3D940BE 18000080
	v_accvgpr_write_b32 a191, 0                                // 000000003504: D3D940BF 18000080
	s_add_u32 m0, 0xf780, s60                                  // 00000000350C: 807C3CFF 0000F780
	buffer_load_dwordx4 v207, s[12:15], 0 offen lds            // 000000003514: E05D1000 800300CF
	v_accvgpr_write_b32 a192, 0                                // 00000000351C: D3D940C0 18000080
	v_accvgpr_write_b32 a193, 0                                // 000000003524: D3D940C1 18000080
	v_accvgpr_write_b32 a194, 0                                // 00000000352C: D3D940C2 18000080
	v_accvgpr_write_b32 a195, 0                                // 000000003534: D3D940C3 18000080
	v_accvgpr_write_b32 a196, 0                                // 00000000353C: D3D940C4 18000080
	v_accvgpr_write_b32 a197, 0                                // 000000003544: D3D940C5 18000080
	v_accvgpr_write_b32 a198, 0                                // 00000000354C: D3D940C6 18000080
	v_accvgpr_write_b32 a199, 0                                // 000000003554: D3D940C7 18000080
	s_add_u32 s12, s62, s12                                    // 00000000355C: 800C0C3E
	s_addc_u32 s13, 0, s13                                     // 000000003560: 820D0D80
	s_sub_u32 s14, s14, s62                                    // 000000003564: 808E3E0E
	v_accvgpr_write_b32 a200, 0                                // 000000003568: D3D940C8 18000080
	v_accvgpr_write_b32 a201, 0                                // 000000003570: D3D940C9 18000080
	v_accvgpr_write_b32 a202, 0                                // 000000003578: D3D940CA 18000080
	v_accvgpr_write_b32 a203, 0                                // 000000003580: D3D940CB 18000080
	v_accvgpr_write_b32 a204, 0                                // 000000003588: D3D940CC 18000080
	v_accvgpr_write_b32 a205, 0                                // 000000003590: D3D940CD 18000080
	v_accvgpr_write_b32 a206, 0                                // 000000003598: D3D940CE 18000080
	v_accvgpr_write_b32 a207, 0                                // 0000000035A0: D3D940CF 18000080
	v_accvgpr_write_b32 a208, 0                                // 0000000035A8: D3D940D0 18000080
	v_accvgpr_write_b32 a209, 0                                // 0000000035B0: D3D940D1 18000080
	v_accvgpr_write_b32 a210, 0                                // 0000000035B8: D3D940D2 18000080
	v_accvgpr_write_b32 a211, 0                                // 0000000035C0: D3D940D3 18000080
	v_accvgpr_write_b32 a212, 0                                // 0000000035C8: D3D940D4 18000080
	v_accvgpr_write_b32 a213, 0                                // 0000000035D0: D3D940D5 18000080
	v_accvgpr_write_b32 a214, 0                                // 0000000035D8: D3D940D6 18000080
	v_accvgpr_write_b32 a215, 0                                // 0000000035E0: D3D940D7 18000080
	v_accvgpr_write_b32 a216, 0                                // 0000000035E8: D3D940D8 18000080
	v_accvgpr_write_b32 a217, 0                                // 0000000035F0: D3D940D9 18000080
	v_accvgpr_write_b32 a218, 0                                // 0000000035F8: D3D940DA 18000080
	v_accvgpr_write_b32 a219, 0                                // 000000003600: D3D940DB 18000080
	v_accvgpr_write_b32 a220, 0                                // 000000003608: D3D940DC 18000080
	v_accvgpr_write_b32 a221, 0                                // 000000003610: D3D940DD 18000080
	v_accvgpr_write_b32 a222, 0                                // 000000003618: D3D940DE 18000080
	v_accvgpr_write_b32 a223, 0                                // 000000003620: D3D940DF 18000080
	v_accvgpr_write_b32 a224, 0                                // 000000003628: D3D940E0 18000080
	v_accvgpr_write_b32 a225, 0                                // 000000003630: D3D940E1 18000080
	v_accvgpr_write_b32 a226, 0                                // 000000003638: D3D940E2 18000080
	v_accvgpr_write_b32 a227, 0                                // 000000003640: D3D940E3 18000080
	v_accvgpr_write_b32 a228, 0                                // 000000003648: D3D940E4 18000080
	v_accvgpr_write_b32 a229, 0                                // 000000003650: D3D940E5 18000080
	v_accvgpr_write_b32 a230, 0                                // 000000003658: D3D940E6 18000080
	v_accvgpr_write_b32 a231, 0                                // 000000003660: D3D940E7 18000080
	v_accvgpr_write_b32 a232, 0                                // 000000003668: D3D940E8 18000080
	v_accvgpr_write_b32 a233, 0                                // 000000003670: D3D940E9 18000080
	v_accvgpr_write_b32 a234, 0                                // 000000003678: D3D940EA 18000080
	v_accvgpr_write_b32 a235, 0                                // 000000003680: D3D940EB 18000080
	v_accvgpr_write_b32 a236, 0                                // 000000003688: D3D940EC 18000080
	v_accvgpr_write_b32 a237, 0                                // 000000003690: D3D940ED 18000080
	v_accvgpr_write_b32 a238, 0                                // 000000003698: D3D940EE 18000080
	v_accvgpr_write_b32 a239, 0                                // 0000000036A0: D3D940EF 18000080
	v_accvgpr_write_b32 a240, 0                                // 0000000036A8: D3D940F0 18000080
	v_accvgpr_write_b32 a241, 0                                // 0000000036B0: D3D940F1 18000080
	v_accvgpr_write_b32 a242, 0                                // 0000000036B8: D3D940F2 18000080
	v_accvgpr_write_b32 a243, 0                                // 0000000036C0: D3D940F3 18000080
	v_accvgpr_write_b32 a244, 0                                // 0000000036C8: D3D940F4 18000080
	v_accvgpr_write_b32 a245, 0                                // 0000000036D0: D3D940F5 18000080
	v_accvgpr_write_b32 a246, 0                                // 0000000036D8: D3D940F6 18000080
	v_accvgpr_write_b32 a247, 0                                // 0000000036E0: D3D940F7 18000080
	v_accvgpr_write_b32 a248, 0                                // 0000000036E8: D3D940F8 18000080
	v_accvgpr_write_b32 a249, 0                                // 0000000036F0: D3D940F9 18000080
	v_accvgpr_write_b32 a250, 0                                // 0000000036F8: D3D940FA 18000080
	v_accvgpr_write_b32 a251, 0                                // 000000003700: D3D940FB 18000080
	v_accvgpr_write_b32 a252, 0                                // 000000003708: D3D940FC 18000080
	v_accvgpr_write_b32 a253, 0                                // 000000003710: D3D940FD 18000080
	v_accvgpr_write_b32 a254, 0                                // 000000003718: D3D940FE 18000080
	v_accvgpr_write_b32 a255, 0                                // 000000003720: D3D940FF 18000080
	s_waitcnt vmcnt(20)                                        // 000000003728: BF8C4F74
	s_barrier                                                  // 00000000372C: BF8A0000
	ds_read_b128 v[8:11], v208                                 // 000000003730: D9FE0000 080000D0
	ds_read_b128 v[40:43], v208 offset:64                      // 000000003738: D9FE0040 280000D0
	ds_read_b128 v[12:15], v208 offset:512                     // 000000003740: D9FE0200 0C0000D0
	ds_read_b128 v[44:47], v208 offset:576                     // 000000003748: D9FE0240 2C0000D0
	ds_read_b128 v[16:19], v208 offset:4224                    // 000000003750: D9FE1080 100000D0
	ds_read_b128 v[48:51], v208 offset:4288                    // 000000003758: D9FE10C0 300000D0
	ds_read_b128 v[20:23], v208 offset:4736                    // 000000003760: D9FE1280 140000D0
	ds_read_b128 v[52:55], v208 offset:4800                    // 000000003768: D9FE12C0 340000D0
	ds_read_b128 v[24:27], v208 offset:8448                    // 000000003770: D9FE2100 180000D0
	ds_read_b128 v[56:59], v208 offset:8512                    // 000000003778: D9FE2140 380000D0
	ds_read_b128 v[28:31], v208 offset:8960                    // 000000003780: D9FE2300 1C0000D0
	ds_read_b128 v[60:63], v208 offset:9024                    // 000000003788: D9FE2340 3C0000D0
	ds_read_b128 v[32:35], v208 offset:12672                   // 000000003790: D9FE3180 200000D0
	ds_read_b128 v[64:67], v208 offset:12736                   // 000000003798: D9FE31C0 400000D0
	ds_read_b128 v[36:39], v208 offset:13184                   // 0000000037A0: D9FE3380 240000D0
	ds_read_b128 v[68:71], v208 offset:13248                   // 0000000037A8: D9FE33C0 440000D0
	s_cmp_lt_u32 s59, 1                                        // 0000000037B0: BF0A813B
	s_cbranch_scc0 label_03A9                                  // 0000000037B4: BF84003B
	s_mul_i32 s51, s47, 0x100                                  // 0000000037B8: 9233FF2F 00000100
	s_mul_hi_u32 s52, s51, s40                                 // 0000000037C0: 96342833
	s_add_u32 s5, s5, s52                                      // 0000000037C4: 80053405
	s_mul_i32 s52, s51, s40                                    // 0000000037C8: 92342833
	s_add_u32 s4, s4, s52                                      // 0000000037CC: 80043404
	s_addc_u32 s5, 0, s5                                       // 0000000037D0: 82050580
	s_sub_i32 s52, s43, s51                                    // 0000000037D4: 81B4332B
	s_cmp_lt_u32 s52, 0x100                                    // 0000000037D8: BF0AFF34 00000100
	s_cselect_b32 s51, s52, 0x100                              // 0000000037E0: 8533FF34 00000100
	s_mul_i32 s51, s51, s40                                    // 0000000037E8: 92332833
	s_mov_b32 s6, s51                                          // 0000000037EC: BE860033
	v_and_b32_e64 v220, v0, 15                                 // 0000000037F0: D11300DC 00011F00
	v_mul_lo_u32 v220, v220, s40                               // 0000000037F8: D28500DC 000051DC
	v_lshrrev_b32_e32 v4, 4, v0                                // 000000003800: 20080084
	v_mul_i32_i24_e32 v4, 16, v4                               // 000000003804: 0C080890
	v_add_u32_e32 v220, v4, v220                               // 000000003808: 69B9B904
	s_mul_i32 s51, s46, 0x100                                  // 00000000380C: 9233FF2E 00000100
	s_mul_i32 s52, s48, 64                                     // 000000003814: 9234C030
	s_add_i32 s51, s51, s52                                    // 000000003818: 81333433
	s_lshl_b32 s51, s51, 2                                     // 00000000381C: 8E338233
	v_add_u32_e32 v220, s51, v220                              // 000000003820: 69B9B833
	s_mul_i32 s52, s40, 16                                     // 000000003824: 92349028
	v_add_u32_e64 v221, v220, s52                              // 000000003828: D13400DD 000069DC
	v_add_u32_e64 v222, v221, s52                              // 000000003830: D13400DE 000069DD
	v_add_u32_e64 v223, v222, s52                              // 000000003838: D13400DF 000069DE
	v_add_u32_e64 v224, v223, s52                              // 000000003840: D13400E0 000069DF
	v_add_u32_e64 v225, v224, s52                              // 000000003848: D13400E1 000069E0
	v_add_u32_e64 v226, v225, s52                              // 000000003850: D13400E2 000069E1
	v_add_u32_e64 v227, v226, s52                              // 000000003858: D13400E3 000069E2
	v_add_u32_e64 v228, v227, s52                              // 000000003860: D13400E4 000069E3
	v_add_u32_e64 v229, v228, s52                              // 000000003868: D13400E5 000069E4
	v_add_u32_e64 v230, v229, s52                              // 000000003870: D13400E6 000069E5
	v_add_u32_e64 v231, v230, s52                              // 000000003878: D13400E7 000069E6
	v_add_u32_e64 v232, v231, s52                              // 000000003880: D13400E8 000069E7
	v_add_u32_e64 v233, v232, s52                              // 000000003888: D13400E9 000069E8
	v_add_u32_e64 v234, v233, s52                              // 000000003890: D13400EA 000069E9
	v_add_u32_e64 v235, v234, s52                              // 000000003898: D13400EB 000069EA
	s_branch label_03E3                                        // 0000000038A0: BF82003A

00000000000038a4 <label_03A9>:
	s_mul_i32 s51, s47, 0x100                                  // 0000000038A4: 9233FF2F 00000100
	s_mul_hi_u32 s52, s51, s40                                 // 0000000038AC: 96342833
	s_add_u32 s5, s5, s52                                      // 0000000038B0: 80053405
	s_mul_i32 s52, s51, s40                                    // 0000000038B4: 92342833
	s_add_u32 s4, s4, s52                                      // 0000000038B8: 80043404
	s_addc_u32 s5, 0, s5                                       // 0000000038BC: 82050580
	s_sub_i32 s51, s43, s51                                    // 0000000038C0: 81B3332B
	s_mul_i32 s51, s51, s40                                    // 0000000038C4: 92332833
	s_mov_b32 s6, s51                                          // 0000000038C8: BE860033
	v_and_b32_e64 v220, v0, 15                                 // 0000000038CC: D11300DC 00011F00
	v_mul_lo_u32 v220, v220, s40                               // 0000000038D4: D28500DC 000051DC
	v_lshrrev_b32_e32 v4, 5, v0                                // 0000000038DC: 20080085
	v_mul_i32_i24_e32 v4, 16, v4                               // 0000000038E0: 0C080890
	v_add_u32_e32 v220, v4, v220                               // 0000000038E4: 69B9B904
	v_lshrrev_b32_e32 v4, 4, v0                                // 0000000038E8: 20080084
	v_and_b32_e32 v4, 1, v4                                    // 0000000038EC: 26080881
	v_mul_i32_i24_e32 v4, 32, v4                               // 0000000038F0: 0C0808A0
	v_add_u32_e32 v220, v4, v220                               // 0000000038F4: 69B9B904
	s_mul_i32 s51, s46, 0x100                                  // 0000000038F8: 9233FF2E 00000100
	s_mul_i32 s52, s48, 64                                     // 000000003900: 9234C030
	s_add_i32 s51, s51, s52                                    // 000000003904: 81333433
	s_lshl_b32 s51, s51, 1                                     // 000000003908: 8E338133
	v_add_u32_e32 v220, s51, v220                              // 00000000390C: 69B9B833
	s_mul_i32 s52, s40, 16                                     // 000000003910: 92349028
	v_add_u32_e64 v221, v220, s52                              // 000000003914: D13400DD 000069DC
	v_add_u32_e64 v222, v221, s52                              // 00000000391C: D13400DE 000069DD
	v_add_u32_e64 v223, v222, s52                              // 000000003924: D13400DF 000069DE
	v_add_u32_e64 v224, v223, s52                              // 00000000392C: D13400E0 000069DF
	v_add_u32_e64 v225, v224, s52                              // 000000003934: D13400E1 000069E0
	v_add_u32_e64 v226, v225, s52                              // 00000000393C: D13400E2 000069E1
	v_add_u32_e64 v227, v226, s52                              // 000000003944: D13400E3 000069E2
	v_add_u32_e64 v228, v227, s52                              // 00000000394C: D13400E4 000069E3
	v_add_u32_e64 v229, v228, s52                              // 000000003954: D13400E5 000069E4
	v_add_u32_e64 v230, v229, s52                              // 00000000395C: D13400E6 000069E5
	v_add_u32_e64 v231, v230, s52                              // 000000003964: D13400E7 000069E6
	v_add_u32_e64 v232, v231, s52                              // 00000000396C: D13400E8 000069E7
	v_add_u32_e64 v233, v232, s52                              // 000000003974: D13400E9 000069E8
	v_add_u32_e64 v234, v233, s52                              // 00000000397C: D13400EA 000069E9
	v_add_u32_e64 v235, v234, s52                              // 000000003984: D13400EB 000069EA

000000000000398c <label_03E3>:
	s_mov_b32 s49, 0                                           // 00000000398C: BEB10080
	s_mov_b32 s50, s45                                         // 000000003990: BEB2002D
	s_cmp_lt_u32 0x80, s50                                     // 000000003994: BF0A32FF 00000080
	s_cselect_b32 s62, s62, 0                                  // 00000000399C: 853E803E
	s_cmp_lt_u32 64, s50                                       // 0000000039A0: BF0A32C0
	s_cselect_b32 s63, s63, 0                                  // 0000000039A4: 853F803F
	s_cmp_lt_i32 s48, 2                                        // 0000000039A8: BF048230
	s_cbranch_scc0 label_06FE                                  // 0000000039AC: BF84030C
	s_nop 0                                                    // 0000000039B0: BF800000
	s_nop 0                                                    // 0000000039B4: BF800000

00000000000039b8 <label_03EE>:
	s_waitcnt vmcnt(8) lgkmcnt(0)                              // 0000000039B8: BF8C0078
	s_barrier                                                  // 0000000039BC: BF8A0000
	v_mfma_f32_16x16x32_bf16 a[0:3], v[136:139], v[8:11], a[0:3]// 0000000039C0: D3B58000 04021188
	buffer_load_dwordx4 v[168:171], v210, s[16:19], 0 offen    // 0000000039C8: E05C1000 8004A8D2
	v_mfma_f32_16x16x32_bf16 a[4:7], v[136:139], v[12:15], a[4:7]// 0000000039D0: D3B58004 04121988
	ds_read_b128 v[72:75], v208 offset:16896                   // 0000000039D8: D9FE4200 480000D0
	v_mfma_f32_16x16x32_bf16 a[8:11], v[136:139], v[16:19], a[8:11]// 0000000039E0: D3B58008 04222188
	v_mfma_f32_16x16x32_bf16 a[12:15], v[136:139], v[20:23], a[12:15]// 0000000039E8: D3B5800C 04322988
	ds_read_b128 v[104:107], v208 offset:16960                 // 0000000039F0: D9FE4240 680000D0
	v_mfma_f32_16x16x32_bf16 a[16:19], v[136:139], v[24:27], a[16:19]// 0000000039F8: D3B58010 04423188
	buffer_load_dwordx4 v[172:175], v211, s[16:19], 0 offen    // 000000003A00: E05C1000 8004ACD3
	v_mfma_f32_16x16x32_bf16 a[20:23], v[136:139], v[28:31], a[20:23]// 000000003A08: D3B58014 04523988
	ds_read_b128 v[76:79], v208 offset:17408                   // 000000003A10: D9FE4400 4C0000D0
	v_mfma_f32_16x16x32_bf16 a[24:27], v[136:139], v[32:35], a[24:27]// 000000003A18: D3B58018 04624188
	v_mfma_f32_16x16x32_bf16 a[28:31], v[136:139], v[36:39], a[28:31]// 000000003A20: D3B5801C 04724988
	ds_read_b128 v[108:111], v208 offset:17472                 // 000000003A28: D9FE4440 6C0000D0
	v_mfma_f32_16x16x32_bf16 a[32:35], v[140:143], v[8:11], a[32:35]// 000000003A30: D3B58020 0482118C
	buffer_load_dwordx4 v[176:179], v212, s[16:19], 0 offen    // 000000003A38: E05C1000 8004B0D4
	v_mfma_f32_16x16x32_bf16 a[36:39], v[140:143], v[12:15], a[36:39]// 000000003A40: D3B58024 0492198C
	ds_read_b128 v[80:83], v208 offset:21120                   // 000000003A48: D9FE5280 500000D0
	v_mfma_f32_16x16x32_bf16 a[40:43], v[140:143], v[16:19], a[40:43]// 000000003A50: D3B58028 04A2218C
	v_mfma_f32_16x16x32_bf16 a[44:47], v[140:143], v[20:23], a[44:47]// 000000003A58: D3B5802C 04B2298C
	ds_read_b128 v[112:115], v208 offset:21184                 // 000000003A60: D9FE52C0 700000D0
	v_mfma_f32_16x16x32_bf16 a[48:51], v[140:143], v[24:27], a[48:51]// 000000003A68: D3B58030 04C2318C
	buffer_load_dwordx4 v[180:183], v213, s[16:19], 0 offen    // 000000003A70: E05C1000 8004B4D5
	v_mfma_f32_16x16x32_bf16 a[52:55], v[140:143], v[28:31], a[52:55]// 000000003A78: D3B58034 04D2398C
	ds_read_b128 v[84:87], v208 offset:21632                   // 000000003A80: D9FE5480 540000D0
	v_mfma_f32_16x16x32_bf16 a[56:59], v[140:143], v[32:35], a[56:59]// 000000003A88: D3B58038 04E2418C
	v_mfma_f32_16x16x32_bf16 a[60:63], v[140:143], v[36:39], a[60:63]// 000000003A90: D3B5803C 04F2498C
	ds_read_b128 v[116:119], v208 offset:21696                 // 000000003A98: D9FE54C0 740000D0
	v_mfma_f32_16x16x32_bf16 a[64:67], v[144:147], v[8:11], a[64:67]// 000000003AA0: D3B58040 05021190
	buffer_load_dwordx4 v[184:187], v214, s[16:19], 0 offen    // 000000003AA8: E05C1000 8004B8D6
	v_mfma_f32_16x16x32_bf16 a[68:71], v[144:147], v[12:15], a[68:71]// 000000003AB0: D3B58044 05121990
	ds_read_b128 v[88:91], v208 offset:25344                   // 000000003AB8: D9FE6300 580000D0
	v_mfma_f32_16x16x32_bf16 a[72:75], v[144:147], v[16:19], a[72:75]// 000000003AC0: D3B58048 05222190
	v_mfma_f32_16x16x32_bf16 a[76:79], v[144:147], v[20:23], a[76:79]// 000000003AC8: D3B5804C 05322990
	ds_read_b128 v[120:123], v208 offset:25408                 // 000000003AD0: D9FE6340 780000D0
	v_mfma_f32_16x16x32_bf16 a[80:83], v[144:147], v[24:27], a[80:83]// 000000003AD8: D3B58050 05423190
	buffer_load_dwordx4 v[188:191], v215, s[16:19], 0 offen    // 000000003AE0: E05C1000 8004BCD7
	v_mfma_f32_16x16x32_bf16 a[84:87], v[144:147], v[28:31], a[84:87]// 000000003AE8: D3B58054 05523990
	ds_read_b128 v[92:95], v208 offset:25856                   // 000000003AF0: D9FE6500 5C0000D0
	v_mfma_f32_16x16x32_bf16 a[88:91], v[144:147], v[32:35], a[88:91]// 000000003AF8: D3B58058 05624190
	v_mfma_f32_16x16x32_bf16 a[92:95], v[144:147], v[36:39], a[92:95]// 000000003B00: D3B5805C 05724990
	ds_read_b128 v[124:127], v208 offset:25920                 // 000000003B08: D9FE6540 7C0000D0
	v_mfma_f32_16x16x32_bf16 a[96:99], v[148:151], v[8:11], a[96:99]// 000000003B10: D3B58060 05821194
	buffer_load_dwordx4 v[192:195], v216, s[16:19], 0 offen    // 000000003B18: E05C1000 8004C0D8
	v_mfma_f32_16x16x32_bf16 a[100:103], v[148:151], v[12:15], a[100:103]// 000000003B20: D3B58064 05921994
	ds_read_b128 v[96:99], v208 offset:29568                   // 000000003B28: D9FE7380 600000D0
	v_mfma_f32_16x16x32_bf16 a[104:107], v[148:151], v[16:19], a[104:107]// 000000003B30: D3B58068 05A22194
	v_mfma_f32_16x16x32_bf16 a[108:111], v[148:151], v[20:23], a[108:111]// 000000003B38: D3B5806C 05B22994
	ds_read_b128 v[128:131], v208 offset:29632                 // 000000003B40: D9FE73C0 800000D0
	v_mfma_f32_16x16x32_bf16 a[112:115], v[148:151], v[24:27], a[112:115]// 000000003B48: D3B58070 05C23194
	buffer_load_dwordx4 v[196:199], v217, s[16:19], 0 offen    // 000000003B50: E05C1000 8004C4D9
	v_mfma_f32_16x16x32_bf16 a[116:119], v[148:151], v[28:31], a[116:119]// 000000003B58: D3B58074 05D23994
	ds_read_b128 v[100:103], v208 offset:30080                 // 000000003B60: D9FE7580 640000D0
	v_mfma_f32_16x16x32_bf16 a[120:123], v[148:151], v[32:35], a[120:123]// 000000003B68: D3B58078 05E24194
	v_mfma_f32_16x16x32_bf16 a[124:127], v[148:151], v[36:39], a[124:127]// 000000003B70: D3B5807C 05F24994
	ds_read_b128 v[132:135], v208 offset:30144                 // 000000003B78: D9FE75C0 840000D0
	v_mfma_f32_16x16x32_bf16 a[0:3], v[152:155], v[40:43], a[0:3]// 000000003B80: D3B58000 04025198
	v_mfma_f32_16x16x32_bf16 a[4:7], v[152:155], v[44:47], a[4:7]// 000000003B88: D3B58004 04125998
	v_mfma_f32_16x16x32_bf16 a[8:11], v[152:155], v[48:51], a[8:11]// 000000003B90: D3B58008 04226198
	v_mfma_f32_16x16x32_bf16 a[12:15], v[152:155], v[52:55], a[12:15]// 000000003B98: D3B5800C 04326998
	v_mfma_f32_16x16x32_bf16 a[16:19], v[152:155], v[56:59], a[16:19]// 000000003BA0: D3B58010 04427198
	v_mfma_f32_16x16x32_bf16 a[20:23], v[152:155], v[60:63], a[20:23]// 000000003BA8: D3B58014 04527998
	v_mfma_f32_16x16x32_bf16 a[24:27], v[152:155], v[64:67], a[24:27]// 000000003BB0: D3B58018 04628198
	v_mfma_f32_16x16x32_bf16 a[28:31], v[152:155], v[68:71], a[28:31]// 000000003BB8: D3B5801C 04728998
	v_mfma_f32_16x16x32_bf16 a[32:35], v[156:159], v[40:43], a[32:35]// 000000003BC0: D3B58020 0482519C
	v_mfma_f32_16x16x32_bf16 a[36:39], v[156:159], v[44:47], a[36:39]// 000000003BC8: D3B58024 0492599C
	v_mfma_f32_16x16x32_bf16 a[40:43], v[156:159], v[48:51], a[40:43]// 000000003BD0: D3B58028 04A2619C
	v_mfma_f32_16x16x32_bf16 a[44:47], v[156:159], v[52:55], a[44:47]// 000000003BD8: D3B5802C 04B2699C
	v_mfma_f32_16x16x32_bf16 a[48:51], v[156:159], v[56:59], a[48:51]// 000000003BE0: D3B58030 04C2719C
	v_mfma_f32_16x16x32_bf16 a[52:55], v[156:159], v[60:63], a[52:55]// 000000003BE8: D3B58034 04D2799C
	v_mfma_f32_16x16x32_bf16 a[56:59], v[156:159], v[64:67], a[56:59]// 000000003BF0: D3B58038 04E2819C
	v_mfma_f32_16x16x32_bf16 a[60:63], v[156:159], v[68:71], a[60:63]// 000000003BF8: D3B5803C 04F2899C
	v_mfma_f32_16x16x32_bf16 a[64:67], v[160:163], v[40:43], a[64:67]// 000000003C00: D3B58040 050251A0
	v_mfma_f32_16x16x32_bf16 a[68:71], v[160:163], v[44:47], a[68:71]// 000000003C08: D3B58044 051259A0
	v_mfma_f32_16x16x32_bf16 a[72:75], v[160:163], v[48:51], a[72:75]// 000000003C10: D3B58048 052261A0
	v_mfma_f32_16x16x32_bf16 a[76:79], v[160:163], v[52:55], a[76:79]// 000000003C18: D3B5804C 053269A0
	v_mfma_f32_16x16x32_bf16 a[80:83], v[160:163], v[56:59], a[80:83]// 000000003C20: D3B58050 054271A0
	v_mfma_f32_16x16x32_bf16 a[84:87], v[160:163], v[60:63], a[84:87]// 000000003C28: D3B58054 055279A0
	v_mfma_f32_16x16x32_bf16 a[88:91], v[160:163], v[64:67], a[88:91]// 000000003C30: D3B58058 056281A0
	v_mfma_f32_16x16x32_bf16 a[92:95], v[160:163], v[68:71], a[92:95]// 000000003C38: D3B5805C 057289A0
	v_mfma_f32_16x16x32_bf16 a[96:99], v[164:167], v[40:43], a[96:99]// 000000003C40: D3B58060 058251A4
	v_mfma_f32_16x16x32_bf16 a[100:103], v[164:167], v[44:47], a[100:103]// 000000003C48: D3B58064 059259A4
	v_mfma_f32_16x16x32_bf16 a[104:107], v[164:167], v[48:51], a[104:107]// 000000003C50: D3B58068 05A261A4
	s_add_u32 s52, 0x80, s49                                   // 000000003C58: 803431FF 00000080
	s_cmp_lt_u32 s52, s50                                      // 000000003C60: BF0A3234
	s_cselect_b32 s63, s63, 0                                  // 000000003C64: 853F803F
	v_mfma_f32_16x16x32_bf16 a[108:111], v[164:167], v[52:55], a[108:111]// 000000003C68: D3B5806C 05B269A4
	s_add_u32 s16, s63, s16                                    // 000000003C70: 8010103F
	s_addc_u32 s17, 0, s17                                     // 000000003C74: 82111180
	s_sub_u32 s18, s18, s63                                    // 000000003C78: 80923F12
	v_mfma_f32_16x16x32_bf16 a[112:115], v[164:167], v[56:59], a[112:115]// 000000003C7C: D3B58070 05C271A4
	v_mfma_f32_16x16x32_bf16 a[116:119], v[164:167], v[60:63], a[116:119]// 000000003C84: D3B58074 05D279A4
	v_mfma_f32_16x16x32_bf16 a[120:123], v[164:167], v[64:67], a[120:123]// 000000003C8C: D3B58078 05E281A4
	v_mfma_f32_16x16x32_bf16 a[124:127], v[164:167], v[68:71], a[124:127]// 000000003C94: D3B5807C 05F289A4
	s_waitcnt vmcnt(12) lgkmcnt(0)                             // 000000003C9C: BF8C007C
	s_barrier                                                  // 000000003CA0: BF8A0000
	v_mfma_f32_16x16x32_bf16 a[128:131], v[136:139], v[72:75], a[128:131]// 000000003CA4: D3B58080 06029188
	s_add_u32 m0, 0, s60                                       // 000000003CAC: 807C3C80
	buffer_load_dwordx4 v200, s[12:15], 0 offen lds            // 000000003CB0: E05D1000 800300C8
	v_mfma_f32_16x16x32_bf16 a[132:135], v[136:139], v[76:79], a[132:135]// 000000003CB8: D3B58084 06129988
	ds_read_b128 v[8:11], v209                                 // 000000003CC0: D9FE0000 080000D1
	v_mfma_f32_16x16x32_bf16 a[136:139], v[136:139], v[80:83], a[136:139]// 000000003CC8: D3B58088 0622A188
	v_mfma_f32_16x16x32_bf16 a[140:143], v[136:139], v[84:87], a[140:143]// 000000003CD0: D3B5808C 0632A988
	ds_read_b128 v[40:43], v209 offset:64                      // 000000003CD8: D9FE0040 280000D1
	v_mfma_f32_16x16x32_bf16 a[144:147], v[136:139], v[88:91], a[144:147]// 000000003CE0: D3B58090 0642B188
	s_add_u32 m0, 0x1080, s60                                  // 000000003CE8: 807C3CFF 00001080
	buffer_load_dwordx4 v201, s[12:15], 0 offen lds            // 000000003CF0: E05D1000 800300C9
	v_mfma_f32_16x16x32_bf16 a[148:151], v[136:139], v[92:95], a[148:151]// 000000003CF8: D3B58094 0652B988
	ds_read_b128 v[12:15], v209 offset:512                     // 000000003D00: D9FE0200 0C0000D1
	v_mfma_f32_16x16x32_bf16 a[152:155], v[136:139], v[96:99], a[152:155]// 000000003D08: D3B58098 0662C188
	v_mfma_f32_16x16x32_bf16 a[156:159], v[136:139], v[100:103], a[156:159]// 000000003D10: D3B5809C 0672C988
	ds_read_b128 v[44:47], v209 offset:576                     // 000000003D18: D9FE0240 2C0000D1
	v_mfma_f32_16x16x32_bf16 a[160:163], v[140:143], v[72:75], a[160:163]// 000000003D20: D3B580A0 0682918C
	s_add_u32 m0, 0x2100, s60                                  // 000000003D28: 807C3CFF 00002100
	buffer_load_dwordx4 v202, s[12:15], 0 offen lds            // 000000003D30: E05D1000 800300CA
	v_mfma_f32_16x16x32_bf16 a[164:167], v[140:143], v[76:79], a[164:167]// 000000003D38: D3B580A4 0692998C
	ds_read_b128 v[16:19], v209 offset:4224                    // 000000003D40: D9FE1080 100000D1
	v_mfma_f32_16x16x32_bf16 a[168:171], v[140:143], v[80:83], a[168:171]// 000000003D48: D3B580A8 06A2A18C
	v_mfma_f32_16x16x32_bf16 a[172:175], v[140:143], v[84:87], a[172:175]// 000000003D50: D3B580AC 06B2A98C
	ds_read_b128 v[48:51], v209 offset:4288                    // 000000003D58: D9FE10C0 300000D1
	v_mfma_f32_16x16x32_bf16 a[176:179], v[140:143], v[88:91], a[176:179]// 000000003D60: D3B580B0 06C2B18C
	s_add_u32 m0, 0x3180, s60                                  // 000000003D68: 807C3CFF 00003180
	buffer_load_dwordx4 v203, s[12:15], 0 offen lds            // 000000003D70: E05D1000 800300CB
	v_mfma_f32_16x16x32_bf16 a[180:183], v[140:143], v[92:95], a[180:183]// 000000003D78: D3B580B4 06D2B98C
	ds_read_b128 v[20:23], v209 offset:4736                    // 000000003D80: D9FE1280 140000D1
	v_mfma_f32_16x16x32_bf16 a[184:187], v[140:143], v[96:99], a[184:187]// 000000003D88: D3B580B8 06E2C18C
	v_mfma_f32_16x16x32_bf16 a[188:191], v[140:143], v[100:103], a[188:191]// 000000003D90: D3B580BC 06F2C98C
	ds_read_b128 v[52:55], v209 offset:4800                    // 000000003D98: D9FE12C0 340000D1
	v_mfma_f32_16x16x32_bf16 a[192:195], v[144:147], v[72:75], a[192:195]// 000000003DA0: D3B580C0 07029190
	s_add_u32 m0, 0x4200, s60                                  // 000000003DA8: 807C3CFF 00004200
	buffer_load_dwordx4 v204, s[12:15], 0 offen lds            // 000000003DB0: E05D1000 800300CC
	v_mfma_f32_16x16x32_bf16 a[196:199], v[144:147], v[76:79], a[196:199]// 000000003DB8: D3B580C4 07129990
	ds_read_b128 v[24:27], v209 offset:8448                    // 000000003DC0: D9FE2100 180000D1
	v_mfma_f32_16x16x32_bf16 a[200:203], v[144:147], v[80:83], a[200:203]// 000000003DC8: D3B580C8 0722A190
	v_mfma_f32_16x16x32_bf16 a[204:207], v[144:147], v[84:87], a[204:207]// 000000003DD0: D3B580CC 0732A990
	ds_read_b128 v[56:59], v209 offset:8512                    // 000000003DD8: D9FE2140 380000D1
	v_mfma_f32_16x16x32_bf16 a[208:211], v[144:147], v[88:91], a[208:211]// 000000003DE0: D3B580D0 0742B190
	s_add_u32 m0, 0x5280, s60                                  // 000000003DE8: 807C3CFF 00005280
	buffer_load_dwordx4 v205, s[12:15], 0 offen lds            // 000000003DF0: E05D1000 800300CD
	v_mfma_f32_16x16x32_bf16 a[212:215], v[144:147], v[92:95], a[212:215]// 000000003DF8: D3B580D4 0752B990
	ds_read_b128 v[28:31], v209 offset:8960                    // 000000003E00: D9FE2300 1C0000D1
	v_mfma_f32_16x16x32_bf16 a[216:219], v[144:147], v[96:99], a[216:219]// 000000003E08: D3B580D8 0762C190
	v_mfma_f32_16x16x32_bf16 a[220:223], v[144:147], v[100:103], a[220:223]// 000000003E10: D3B580DC 0772C990
	ds_read_b128 v[60:63], v209 offset:9024                    // 000000003E18: D9FE2340 3C0000D1
	v_mfma_f32_16x16x32_bf16 a[224:227], v[148:151], v[72:75], a[224:227]// 000000003E20: D3B580E0 07829194
	s_add_u32 m0, 0x6300, s60                                  // 000000003E28: 807C3CFF 00006300
	buffer_load_dwordx4 v206, s[12:15], 0 offen lds            // 000000003E30: E05D1000 800300CE
	v_mfma_f32_16x16x32_bf16 a[228:231], v[148:151], v[76:79], a[228:231]// 000000003E38: D3B580E4 07929994
	ds_read_b128 v[32:35], v209 offset:12672                   // 000000003E40: D9FE3180 200000D1
	v_mfma_f32_16x16x32_bf16 a[232:235], v[148:151], v[80:83], a[232:235]// 000000003E48: D3B580E8 07A2A194
	v_mfma_f32_16x16x32_bf16 a[236:239], v[148:151], v[84:87], a[236:239]// 000000003E50: D3B580EC 07B2A994
	ds_read_b128 v[64:67], v209 offset:12736                   // 000000003E58: D9FE31C0 400000D1
	v_mfma_f32_16x16x32_bf16 a[240:243], v[148:151], v[88:91], a[240:243]// 000000003E60: D3B580F0 07C2B194
	s_add_u32 m0, 0x7380, s60                                  // 000000003E68: 807C3CFF 00007380
	buffer_load_dwordx4 v207, s[12:15], 0 offen lds            // 000000003E70: E05D1000 800300CF
	v_mfma_f32_16x16x32_bf16 a[244:247], v[148:151], v[92:95], a[244:247]// 000000003E78: D3B580F4 07D2B994
	ds_read_b128 v[36:39], v209 offset:13184                   // 000000003E80: D9FE3380 240000D1
	v_mfma_f32_16x16x32_bf16 a[248:251], v[148:151], v[96:99], a[248:251]// 000000003E88: D3B580F8 07E2C194
	v_mfma_f32_16x16x32_bf16 a[252:255], v[148:151], v[100:103], a[252:255]// 000000003E90: D3B580FC 07F2C994
	ds_read_b128 v[68:71], v209 offset:13248                   // 000000003E98: D9FE33C0 440000D1
	v_mfma_f32_16x16x32_bf16 a[128:131], v[152:155], v[104:107], a[128:131]// 000000003EA0: D3B58080 0602D198
	v_mfma_f32_16x16x32_bf16 a[132:135], v[152:155], v[108:111], a[132:135]// 000000003EA8: D3B58084 0612D998
	v_mfma_f32_16x16x32_bf16 a[136:139], v[152:155], v[112:115], a[136:139]// 000000003EB0: D3B58088 0622E198
	v_mfma_f32_16x16x32_bf16 a[140:143], v[152:155], v[116:119], a[140:143]// 000000003EB8: D3B5808C 0632E998
	v_mfma_f32_16x16x32_bf16 a[144:147], v[152:155], v[120:123], a[144:147]// 000000003EC0: D3B58090 0642F198
	v_mfma_f32_16x16x32_bf16 a[148:151], v[152:155], v[124:127], a[148:151]// 000000003EC8: D3B58094 0652F998
	v_mfma_f32_16x16x32_bf16 a[152:155], v[152:155], v[128:131], a[152:155]// 000000003ED0: D3B58098 06630198
	v_mfma_f32_16x16x32_bf16 a[156:159], v[152:155], v[132:135], a[156:159]// 000000003ED8: D3B5809C 06730998
	v_mfma_f32_16x16x32_bf16 a[160:163], v[156:159], v[104:107], a[160:163]// 000000003EE0: D3B580A0 0682D19C
	v_mfma_f32_16x16x32_bf16 a[164:167], v[156:159], v[108:111], a[164:167]// 000000003EE8: D3B580A4 0692D99C
	v_mfma_f32_16x16x32_bf16 a[168:171], v[156:159], v[112:115], a[168:171]// 000000003EF0: D3B580A8 06A2E19C
	v_mfma_f32_16x16x32_bf16 a[172:175], v[156:159], v[116:119], a[172:175]// 000000003EF8: D3B580AC 06B2E99C
	v_mfma_f32_16x16x32_bf16 a[176:179], v[156:159], v[120:123], a[176:179]// 000000003F00: D3B580B0 06C2F19C
	v_mfma_f32_16x16x32_bf16 a[180:183], v[156:159], v[124:127], a[180:183]// 000000003F08: D3B580B4 06D2F99C
	v_mfma_f32_16x16x32_bf16 a[184:187], v[156:159], v[128:131], a[184:187]// 000000003F10: D3B580B8 06E3019C
	v_mfma_f32_16x16x32_bf16 a[188:191], v[156:159], v[132:135], a[188:191]// 000000003F18: D3B580BC 06F3099C
	v_mfma_f32_16x16x32_bf16 a[192:195], v[160:163], v[104:107], a[192:195]// 000000003F20: D3B580C0 0702D1A0
	v_mfma_f32_16x16x32_bf16 a[196:199], v[160:163], v[108:111], a[196:199]// 000000003F28: D3B580C4 0712D9A0
	v_mfma_f32_16x16x32_bf16 a[200:203], v[160:163], v[112:115], a[200:203]// 000000003F30: D3B580C8 0722E1A0
	v_mfma_f32_16x16x32_bf16 a[204:207], v[160:163], v[116:119], a[204:207]// 000000003F38: D3B580CC 0732E9A0
	v_mfma_f32_16x16x32_bf16 a[208:211], v[160:163], v[120:123], a[208:211]// 000000003F40: D3B580D0 0742F1A0
	v_mfma_f32_16x16x32_bf16 a[212:215], v[160:163], v[124:127], a[212:215]// 000000003F48: D3B580D4 0752F9A0
	v_mfma_f32_16x16x32_bf16 a[216:219], v[160:163], v[128:131], a[216:219]// 000000003F50: D3B580D8 076301A0
	v_mfma_f32_16x16x32_bf16 a[220:223], v[160:163], v[132:135], a[220:223]// 000000003F58: D3B580DC 077309A0
	v_mfma_f32_16x16x32_bf16 a[224:227], v[164:167], v[104:107], a[224:227]// 000000003F60: D3B580E0 0782D1A4
	v_mfma_f32_16x16x32_bf16 a[228:231], v[164:167], v[108:111], a[228:231]// 000000003F68: D3B580E4 0792D9A4
	v_mfma_f32_16x16x32_bf16 a[232:235], v[164:167], v[112:115], a[232:235]// 000000003F70: D3B580E8 07A2E1A4
	s_add_u32 s51, 0xc0, s49                                   // 000000003F78: 803331FF 000000C0
	s_cmp_lt_u32 s51, s50                                      // 000000003F80: BF0A3233
	s_cselect_b32 s62, s62, 0                                  // 000000003F84: 853E803E
	v_mfma_f32_16x16x32_bf16 a[236:239], v[164:167], v[116:119], a[236:239]// 000000003F88: D3B580EC 07B2E9A4
	s_add_u32 s12, s62, s12                                    // 000000003F90: 800C0C3E
	s_addc_u32 s13, 0, s13                                     // 000000003F94: 820D0D80
	s_sub_u32 s14, s14, s62                                    // 000000003F98: 808E3E0E
	v_mfma_f32_16x16x32_bf16 a[240:243], v[164:167], v[120:123], a[240:243]// 000000003F9C: D3B580F0 07C2F1A4
	v_mfma_f32_16x16x32_bf16 a[244:247], v[164:167], v[124:127], a[244:247]// 000000003FA4: D3B580F4 07D2F9A4
	v_mfma_f32_16x16x32_bf16 a[248:251], v[164:167], v[128:131], a[248:251]// 000000003FAC: D3B580F8 07E301A4
	s_addk_i32 s49, 0x40                                       // 000000003FB4: B7310040
	s_cmp_lt_i32 s49, s50                                      // 000000003FB8: BF043231
	v_mfma_f32_16x16x32_bf16 a[252:255], v[164:167], v[132:135], a[252:255]// 000000003FBC: D3B580FC 07F309A4
	s_cbranch_scc0 label_0A08                                  // 000000003FC4: BF840490
	s_waitcnt vmcnt(8) lgkmcnt(0)                              // 000000003FC8: BF8C0078
	s_barrier                                                  // 000000003FCC: BF8A0000
	v_mfma_f32_16x16x32_bf16 a[0:3], v[168:171], v[8:11], a[0:3]// 000000003FD0: D3B58000 040211A8
	buffer_load_dwordx4 v[136:139], v210, s[16:19], 0 offen    // 000000003FD8: E05C1000 800488D2
	v_mfma_f32_16x16x32_bf16 a[4:7], v[168:171], v[12:15], a[4:7]// 000000003FE0: D3B58004 041219A8
	ds_read_b128 v[72:75], v209 offset:16896                   // 000000003FE8: D9FE4200 480000D1
	v_mfma_f32_16x16x32_bf16 a[8:11], v[168:171], v[16:19], a[8:11]// 000000003FF0: D3B58008 042221A8
	v_mfma_f32_16x16x32_bf16 a[12:15], v[168:171], v[20:23], a[12:15]// 000000003FF8: D3B5800C 043229A8
	ds_read_b128 v[104:107], v209 offset:16960                 // 000000004000: D9FE4240 680000D1
	v_mfma_f32_16x16x32_bf16 a[16:19], v[168:171], v[24:27], a[16:19]// 000000004008: D3B58010 044231A8
	buffer_load_dwordx4 v[140:143], v211, s[16:19], 0 offen    // 000000004010: E05C1000 80048CD3
	v_mfma_f32_16x16x32_bf16 a[20:23], v[168:171], v[28:31], a[20:23]// 000000004018: D3B58014 045239A8
	ds_read_b128 v[76:79], v209 offset:17408                   // 000000004020: D9FE4400 4C0000D1
	v_mfma_f32_16x16x32_bf16 a[24:27], v[168:171], v[32:35], a[24:27]// 000000004028: D3B58018 046241A8
	v_mfma_f32_16x16x32_bf16 a[28:31], v[168:171], v[36:39], a[28:31]// 000000004030: D3B5801C 047249A8
	ds_read_b128 v[108:111], v209 offset:17472                 // 000000004038: D9FE4440 6C0000D1
	v_mfma_f32_16x16x32_bf16 a[32:35], v[172:175], v[8:11], a[32:35]// 000000004040: D3B58020 048211AC
	buffer_load_dwordx4 v[144:147], v212, s[16:19], 0 offen    // 000000004048: E05C1000 800490D4
	v_mfma_f32_16x16x32_bf16 a[36:39], v[172:175], v[12:15], a[36:39]// 000000004050: D3B58024 049219AC
	ds_read_b128 v[80:83], v209 offset:21120                   // 000000004058: D9FE5280 500000D1
	v_mfma_f32_16x16x32_bf16 a[40:43], v[172:175], v[16:19], a[40:43]// 000000004060: D3B58028 04A221AC
	v_mfma_f32_16x16x32_bf16 a[44:47], v[172:175], v[20:23], a[44:47]// 000000004068: D3B5802C 04B229AC
	ds_read_b128 v[112:115], v209 offset:21184                 // 000000004070: D9FE52C0 700000D1
	v_mfma_f32_16x16x32_bf16 a[48:51], v[172:175], v[24:27], a[48:51]// 000000004078: D3B58030 04C231AC
	buffer_load_dwordx4 v[148:151], v213, s[16:19], 0 offen    // 000000004080: E05C1000 800494D5
	v_mfma_f32_16x16x32_bf16 a[52:55], v[172:175], v[28:31], a[52:55]// 000000004088: D3B58034 04D239AC
	ds_read_b128 v[84:87], v209 offset:21632                   // 000000004090: D9FE5480 540000D1
	v_mfma_f32_16x16x32_bf16 a[56:59], v[172:175], v[32:35], a[56:59]// 000000004098: D3B58038 04E241AC
	v_mfma_f32_16x16x32_bf16 a[60:63], v[172:175], v[36:39], a[60:63]// 0000000040A0: D3B5803C 04F249AC
	ds_read_b128 v[116:119], v209 offset:21696                 // 0000000040A8: D9FE54C0 740000D1
	v_mfma_f32_16x16x32_bf16 a[64:67], v[176:179], v[8:11], a[64:67]// 0000000040B0: D3B58040 050211B0
	buffer_load_dwordx4 v[152:155], v214, s[16:19], 0 offen    // 0000000040B8: E05C1000 800498D6
	v_mfma_f32_16x16x32_bf16 a[68:71], v[176:179], v[12:15], a[68:71]// 0000000040C0: D3B58044 051219B0
	ds_read_b128 v[88:91], v209 offset:25344                   // 0000000040C8: D9FE6300 580000D1
	v_mfma_f32_16x16x32_bf16 a[72:75], v[176:179], v[16:19], a[72:75]// 0000000040D0: D3B58048 052221B0
	v_mfma_f32_16x16x32_bf16 a[76:79], v[176:179], v[20:23], a[76:79]// 0000000040D8: D3B5804C 053229B0
	ds_read_b128 v[120:123], v209 offset:25408                 // 0000000040E0: D9FE6340 780000D1
	v_mfma_f32_16x16x32_bf16 a[80:83], v[176:179], v[24:27], a[80:83]// 0000000040E8: D3B58050 054231B0
	buffer_load_dwordx4 v[156:159], v215, s[16:19], 0 offen    // 0000000040F0: E05C1000 80049CD7
	v_mfma_f32_16x16x32_bf16 a[84:87], v[176:179], v[28:31], a[84:87]// 0000000040F8: D3B58054 055239B0
	ds_read_b128 v[92:95], v209 offset:25856                   // 000000004100: D9FE6500 5C0000D1
	v_mfma_f32_16x16x32_bf16 a[88:91], v[176:179], v[32:35], a[88:91]// 000000004108: D3B58058 056241B0
	v_mfma_f32_16x16x32_bf16 a[92:95], v[176:179], v[36:39], a[92:95]// 000000004110: D3B5805C 057249B0
	ds_read_b128 v[124:127], v209 offset:25920                 // 000000004118: D9FE6540 7C0000D1
	v_mfma_f32_16x16x32_bf16 a[96:99], v[180:183], v[8:11], a[96:99]// 000000004120: D3B58060 058211B4
	buffer_load_dwordx4 v[160:163], v216, s[16:19], 0 offen    // 000000004128: E05C1000 8004A0D8
	v_mfma_f32_16x16x32_bf16 a[100:103], v[180:183], v[12:15], a[100:103]// 000000004130: D3B58064 059219B4
	ds_read_b128 v[96:99], v209 offset:29568                   // 000000004138: D9FE7380 600000D1
	v_mfma_f32_16x16x32_bf16 a[104:107], v[180:183], v[16:19], a[104:107]// 000000004140: D3B58068 05A221B4
	v_mfma_f32_16x16x32_bf16 a[108:111], v[180:183], v[20:23], a[108:111]// 000000004148: D3B5806C 05B229B4
	ds_read_b128 v[128:131], v209 offset:29632                 // 000000004150: D9FE73C0 800000D1
	v_mfma_f32_16x16x32_bf16 a[112:115], v[180:183], v[24:27], a[112:115]// 000000004158: D3B58070 05C231B4
	buffer_load_dwordx4 v[164:167], v217, s[16:19], 0 offen    // 000000004160: E05C1000 8004A4D9
	v_mfma_f32_16x16x32_bf16 a[116:119], v[180:183], v[28:31], a[116:119]// 000000004168: D3B58074 05D239B4
	ds_read_b128 v[100:103], v209 offset:30080                 // 000000004170: D9FE7580 640000D1
	v_mfma_f32_16x16x32_bf16 a[120:123], v[180:183], v[32:35], a[120:123]// 000000004178: D3B58078 05E241B4
	v_mfma_f32_16x16x32_bf16 a[124:127], v[180:183], v[36:39], a[124:127]// 000000004180: D3B5807C 05F249B4
	ds_read_b128 v[132:135], v209 offset:30144                 // 000000004188: D9FE75C0 840000D1
	v_mfma_f32_16x16x32_bf16 a[0:3], v[184:187], v[40:43], a[0:3]// 000000004190: D3B58000 040251B8
	v_mfma_f32_16x16x32_bf16 a[4:7], v[184:187], v[44:47], a[4:7]// 000000004198: D3B58004 041259B8
	v_mfma_f32_16x16x32_bf16 a[8:11], v[184:187], v[48:51], a[8:11]// 0000000041A0: D3B58008 042261B8
	v_mfma_f32_16x16x32_bf16 a[12:15], v[184:187], v[52:55], a[12:15]// 0000000041A8: D3B5800C 043269B8
	v_mfma_f32_16x16x32_bf16 a[16:19], v[184:187], v[56:59], a[16:19]// 0000000041B0: D3B58010 044271B8
	v_mfma_f32_16x16x32_bf16 a[20:23], v[184:187], v[60:63], a[20:23]// 0000000041B8: D3B58014 045279B8
	v_mfma_f32_16x16x32_bf16 a[24:27], v[184:187], v[64:67], a[24:27]// 0000000041C0: D3B58018 046281B8
	v_mfma_f32_16x16x32_bf16 a[28:31], v[184:187], v[68:71], a[28:31]// 0000000041C8: D3B5801C 047289B8
	v_mfma_f32_16x16x32_bf16 a[32:35], v[188:191], v[40:43], a[32:35]// 0000000041D0: D3B58020 048251BC
	v_mfma_f32_16x16x32_bf16 a[36:39], v[188:191], v[44:47], a[36:39]// 0000000041D8: D3B58024 049259BC
	v_mfma_f32_16x16x32_bf16 a[40:43], v[188:191], v[48:51], a[40:43]// 0000000041E0: D3B58028 04A261BC
	v_mfma_f32_16x16x32_bf16 a[44:47], v[188:191], v[52:55], a[44:47]// 0000000041E8: D3B5802C 04B269BC
	v_mfma_f32_16x16x32_bf16 a[48:51], v[188:191], v[56:59], a[48:51]// 0000000041F0: D3B58030 04C271BC
	v_mfma_f32_16x16x32_bf16 a[52:55], v[188:191], v[60:63], a[52:55]// 0000000041F8: D3B58034 04D279BC
	v_mfma_f32_16x16x32_bf16 a[56:59], v[188:191], v[64:67], a[56:59]// 000000004200: D3B58038 04E281BC
	v_mfma_f32_16x16x32_bf16 a[60:63], v[188:191], v[68:71], a[60:63]// 000000004208: D3B5803C 04F289BC
	v_mfma_f32_16x16x32_bf16 a[64:67], v[192:195], v[40:43], a[64:67]// 000000004210: D3B58040 050251C0
	v_mfma_f32_16x16x32_bf16 a[68:71], v[192:195], v[44:47], a[68:71]// 000000004218: D3B58044 051259C0
	v_mfma_f32_16x16x32_bf16 a[72:75], v[192:195], v[48:51], a[72:75]// 000000004220: D3B58048 052261C0
	v_mfma_f32_16x16x32_bf16 a[76:79], v[192:195], v[52:55], a[76:79]// 000000004228: D3B5804C 053269C0
	v_mfma_f32_16x16x32_bf16 a[80:83], v[192:195], v[56:59], a[80:83]// 000000004230: D3B58050 054271C0
	v_mfma_f32_16x16x32_bf16 a[84:87], v[192:195], v[60:63], a[84:87]// 000000004238: D3B58054 055279C0
	v_mfma_f32_16x16x32_bf16 a[88:91], v[192:195], v[64:67], a[88:91]// 000000004240: D3B58058 056281C0
	v_mfma_f32_16x16x32_bf16 a[92:95], v[192:195], v[68:71], a[92:95]// 000000004248: D3B5805C 057289C0
	v_mfma_f32_16x16x32_bf16 a[96:99], v[196:199], v[40:43], a[96:99]// 000000004250: D3B58060 058251C4
	v_mfma_f32_16x16x32_bf16 a[100:103], v[196:199], v[44:47], a[100:103]// 000000004258: D3B58064 059259C4
	v_mfma_f32_16x16x32_bf16 a[104:107], v[196:199], v[48:51], a[104:107]// 000000004260: D3B58068 05A261C4
	s_add_u32 s52, 0x80, s49                                   // 000000004268: 803431FF 00000080
	s_cmp_lt_u32 s52, s50                                      // 000000004270: BF0A3234
	s_cselect_b32 s63, s63, 0                                  // 000000004274: 853F803F
	v_mfma_f32_16x16x32_bf16 a[108:111], v[196:199], v[52:55], a[108:111]// 000000004278: D3B5806C 05B269C4
	s_add_u32 s16, s63, s16                                    // 000000004280: 8010103F
	s_addc_u32 s17, 0, s17                                     // 000000004284: 82111180
	s_sub_u32 s18, s18, s63                                    // 000000004288: 80923F12
	v_mfma_f32_16x16x32_bf16 a[112:115], v[196:199], v[56:59], a[112:115]// 00000000428C: D3B58070 05C271C4
	v_mfma_f32_16x16x32_bf16 a[116:119], v[196:199], v[60:63], a[116:119]// 000000004294: D3B58074 05D279C4
	v_mfma_f32_16x16x32_bf16 a[120:123], v[196:199], v[64:67], a[120:123]// 00000000429C: D3B58078 05E281C4
	v_mfma_f32_16x16x32_bf16 a[124:127], v[196:199], v[68:71], a[124:127]// 0000000042A4: D3B5807C 05F289C4
	s_waitcnt vmcnt(12) lgkmcnt(0)                             // 0000000042AC: BF8C007C
	s_barrier                                                  // 0000000042B0: BF8A0000
	v_mfma_f32_16x16x32_bf16 a[128:131], v[168:171], v[72:75], a[128:131]// 0000000042B4: D3B58080 060291A8
	s_add_u32 m0, 0x8400, s60                                  // 0000000042BC: 807C3CFF 00008400
	buffer_load_dwordx4 v200, s[12:15], 0 offen lds            // 0000000042C4: E05D1000 800300C8
	v_mfma_f32_16x16x32_bf16 a[132:135], v[168:171], v[76:79], a[132:135]// 0000000042CC: D3B58084 061299A8
	ds_read_b128 v[8:11], v208                                 // 0000000042D4: D9FE0000 080000D0
	v_mfma_f32_16x16x32_bf16 a[136:139], v[168:171], v[80:83], a[136:139]// 0000000042DC: D3B58088 0622A1A8
	v_mfma_f32_16x16x32_bf16 a[140:143], v[168:171], v[84:87], a[140:143]// 0000000042E4: D3B5808C 0632A9A8
	ds_read_b128 v[40:43], v208 offset:64                      // 0000000042EC: D9FE0040 280000D0
	v_mfma_f32_16x16x32_bf16 a[144:147], v[168:171], v[88:91], a[144:147]// 0000000042F4: D3B58090 0642B1A8
	s_add_u32 m0, 0x9480, s60                                  // 0000000042FC: 807C3CFF 00009480
	buffer_load_dwordx4 v201, s[12:15], 0 offen lds            // 000000004304: E05D1000 800300C9
	v_mfma_f32_16x16x32_bf16 a[148:151], v[168:171], v[92:95], a[148:151]// 00000000430C: D3B58094 0652B9A8
	ds_read_b128 v[12:15], v208 offset:512                     // 000000004314: D9FE0200 0C0000D0
	v_mfma_f32_16x16x32_bf16 a[152:155], v[168:171], v[96:99], a[152:155]// 00000000431C: D3B58098 0662C1A8
	v_mfma_f32_16x16x32_bf16 a[156:159], v[168:171], v[100:103], a[156:159]// 000000004324: D3B5809C 0672C9A8
	ds_read_b128 v[44:47], v208 offset:576                     // 00000000432C: D9FE0240 2C0000D0
	v_mfma_f32_16x16x32_bf16 a[160:163], v[172:175], v[72:75], a[160:163]// 000000004334: D3B580A0 068291AC
	s_add_u32 m0, 0xa500, s60                                  // 00000000433C: 807C3CFF 0000A500
	buffer_load_dwordx4 v202, s[12:15], 0 offen lds            // 000000004344: E05D1000 800300CA
	v_mfma_f32_16x16x32_bf16 a[164:167], v[172:175], v[76:79], a[164:167]// 00000000434C: D3B580A4 069299AC
	ds_read_b128 v[16:19], v208 offset:4224                    // 000000004354: D9FE1080 100000D0
	v_mfma_f32_16x16x32_bf16 a[168:171], v[172:175], v[80:83], a[168:171]// 00000000435C: D3B580A8 06A2A1AC
	v_mfma_f32_16x16x32_bf16 a[172:175], v[172:175], v[84:87], a[172:175]// 000000004364: D3B580AC 06B2A9AC
	ds_read_b128 v[48:51], v208 offset:4288                    // 00000000436C: D9FE10C0 300000D0
	v_mfma_f32_16x16x32_bf16 a[176:179], v[172:175], v[88:91], a[176:179]// 000000004374: D3B580B0 06C2B1AC
	s_add_u32 m0, 0xb580, s60                                  // 00000000437C: 807C3CFF 0000B580
	buffer_load_dwordx4 v203, s[12:15], 0 offen lds            // 000000004384: E05D1000 800300CB
	v_mfma_f32_16x16x32_bf16 a[180:183], v[172:175], v[92:95], a[180:183]// 00000000438C: D3B580B4 06D2B9AC
	ds_read_b128 v[20:23], v208 offset:4736                    // 000000004394: D9FE1280 140000D0
	v_mfma_f32_16x16x32_bf16 a[184:187], v[172:175], v[96:99], a[184:187]// 00000000439C: D3B580B8 06E2C1AC
	v_mfma_f32_16x16x32_bf16 a[188:191], v[172:175], v[100:103], a[188:191]// 0000000043A4: D3B580BC 06F2C9AC
	ds_read_b128 v[52:55], v208 offset:4800                    // 0000000043AC: D9FE12C0 340000D0
	v_mfma_f32_16x16x32_bf16 a[192:195], v[176:179], v[72:75], a[192:195]// 0000000043B4: D3B580C0 070291B0
	s_add_u32 m0, 0xc600, s60                                  // 0000000043BC: 807C3CFF 0000C600
	buffer_load_dwordx4 v204, s[12:15], 0 offen lds            // 0000000043C4: E05D1000 800300CC
	v_mfma_f32_16x16x32_bf16 a[196:199], v[176:179], v[76:79], a[196:199]// 0000000043CC: D3B580C4 071299B0
	ds_read_b128 v[24:27], v208 offset:8448                    // 0000000043D4: D9FE2100 180000D0
	v_mfma_f32_16x16x32_bf16 a[200:203], v[176:179], v[80:83], a[200:203]// 0000000043DC: D3B580C8 0722A1B0
	v_mfma_f32_16x16x32_bf16 a[204:207], v[176:179], v[84:87], a[204:207]// 0000000043E4: D3B580CC 0732A9B0
	ds_read_b128 v[56:59], v208 offset:8512                    // 0000000043EC: D9FE2140 380000D0
	v_mfma_f32_16x16x32_bf16 a[208:211], v[176:179], v[88:91], a[208:211]// 0000000043F4: D3B580D0 0742B1B0
	s_add_u32 m0, 0xd680, s60                                  // 0000000043FC: 807C3CFF 0000D680
	buffer_load_dwordx4 v205, s[12:15], 0 offen lds            // 000000004404: E05D1000 800300CD
	v_mfma_f32_16x16x32_bf16 a[212:215], v[176:179], v[92:95], a[212:215]// 00000000440C: D3B580D4 0752B9B0
	ds_read_b128 v[28:31], v208 offset:8960                    // 000000004414: D9FE2300 1C0000D0
	v_mfma_f32_16x16x32_bf16 a[216:219], v[176:179], v[96:99], a[216:219]// 00000000441C: D3B580D8 0762C1B0
	v_mfma_f32_16x16x32_bf16 a[220:223], v[176:179], v[100:103], a[220:223]// 000000004424: D3B580DC 0772C9B0
	ds_read_b128 v[60:63], v208 offset:9024                    // 00000000442C: D9FE2340 3C0000D0
	v_mfma_f32_16x16x32_bf16 a[224:227], v[180:183], v[72:75], a[224:227]// 000000004434: D3B580E0 078291B4
	s_add_u32 m0, 0xe700, s60                                  // 00000000443C: 807C3CFF 0000E700
	buffer_load_dwordx4 v206, s[12:15], 0 offen lds            // 000000004444: E05D1000 800300CE
	v_mfma_f32_16x16x32_bf16 a[228:231], v[180:183], v[76:79], a[228:231]// 00000000444C: D3B580E4 079299B4
	ds_read_b128 v[32:35], v208 offset:12672                   // 000000004454: D9FE3180 200000D0
	v_mfma_f32_16x16x32_bf16 a[232:235], v[180:183], v[80:83], a[232:235]// 00000000445C: D3B580E8 07A2A1B4
	v_mfma_f32_16x16x32_bf16 a[236:239], v[180:183], v[84:87], a[236:239]// 000000004464: D3B580EC 07B2A9B4
	ds_read_b128 v[64:67], v208 offset:12736                   // 00000000446C: D9FE31C0 400000D0
	v_mfma_f32_16x16x32_bf16 a[240:243], v[180:183], v[88:91], a[240:243]// 000000004474: D3B580F0 07C2B1B4
	s_add_u32 m0, 0xf780, s60                                  // 00000000447C: 807C3CFF 0000F780
	buffer_load_dwordx4 v207, s[12:15], 0 offen lds            // 000000004484: E05D1000 800300CF
	v_mfma_f32_16x16x32_bf16 a[244:247], v[180:183], v[92:95], a[244:247]// 00000000448C: D3B580F4 07D2B9B4
	ds_read_b128 v[36:39], v208 offset:13184                   // 000000004494: D9FE3380 240000D0
	v_mfma_f32_16x16x32_bf16 a[248:251], v[180:183], v[96:99], a[248:251]// 00000000449C: D3B580F8 07E2C1B4
	v_mfma_f32_16x16x32_bf16 a[252:255], v[180:183], v[100:103], a[252:255]// 0000000044A4: D3B580FC 07F2C9B4
	ds_read_b128 v[68:71], v208 offset:13248                   // 0000000044AC: D9FE33C0 440000D0
	v_mfma_f32_16x16x32_bf16 a[128:131], v[184:187], v[104:107], a[128:131]// 0000000044B4: D3B58080 0602D1B8
	v_mfma_f32_16x16x32_bf16 a[132:135], v[184:187], v[108:111], a[132:135]// 0000000044BC: D3B58084 0612D9B8
	v_mfma_f32_16x16x32_bf16 a[136:139], v[184:187], v[112:115], a[136:139]// 0000000044C4: D3B58088 0622E1B8
	v_mfma_f32_16x16x32_bf16 a[140:143], v[184:187], v[116:119], a[140:143]// 0000000044CC: D3B5808C 0632E9B8
	v_mfma_f32_16x16x32_bf16 a[144:147], v[184:187], v[120:123], a[144:147]// 0000000044D4: D3B58090 0642F1B8
	v_mfma_f32_16x16x32_bf16 a[148:151], v[184:187], v[124:127], a[148:151]// 0000000044DC: D3B58094 0652F9B8
	v_mfma_f32_16x16x32_bf16 a[152:155], v[184:187], v[128:131], a[152:155]// 0000000044E4: D3B58098 066301B8
	v_mfma_f32_16x16x32_bf16 a[156:159], v[184:187], v[132:135], a[156:159]// 0000000044EC: D3B5809C 067309B8
	v_mfma_f32_16x16x32_bf16 a[160:163], v[188:191], v[104:107], a[160:163]// 0000000044F4: D3B580A0 0682D1BC
	v_mfma_f32_16x16x32_bf16 a[164:167], v[188:191], v[108:111], a[164:167]// 0000000044FC: D3B580A4 0692D9BC
	v_mfma_f32_16x16x32_bf16 a[168:171], v[188:191], v[112:115], a[168:171]// 000000004504: D3B580A8 06A2E1BC
	v_mfma_f32_16x16x32_bf16 a[172:175], v[188:191], v[116:119], a[172:175]// 00000000450C: D3B580AC 06B2E9BC
	v_mfma_f32_16x16x32_bf16 a[176:179], v[188:191], v[120:123], a[176:179]// 000000004514: D3B580B0 06C2F1BC
	v_mfma_f32_16x16x32_bf16 a[180:183], v[188:191], v[124:127], a[180:183]// 00000000451C: D3B580B4 06D2F9BC
	v_mfma_f32_16x16x32_bf16 a[184:187], v[188:191], v[128:131], a[184:187]// 000000004524: D3B580B8 06E301BC
	v_mfma_f32_16x16x32_bf16 a[188:191], v[188:191], v[132:135], a[188:191]// 00000000452C: D3B580BC 06F309BC
	v_mfma_f32_16x16x32_bf16 a[192:195], v[192:195], v[104:107], a[192:195]// 000000004534: D3B580C0 0702D1C0
	v_mfma_f32_16x16x32_bf16 a[196:199], v[192:195], v[108:111], a[196:199]// 00000000453C: D3B580C4 0712D9C0
	v_mfma_f32_16x16x32_bf16 a[200:203], v[192:195], v[112:115], a[200:203]// 000000004544: D3B580C8 0722E1C0
	v_mfma_f32_16x16x32_bf16 a[204:207], v[192:195], v[116:119], a[204:207]// 00000000454C: D3B580CC 0732E9C0
	v_mfma_f32_16x16x32_bf16 a[208:211], v[192:195], v[120:123], a[208:211]// 000000004554: D3B580D0 0742F1C0
	v_mfma_f32_16x16x32_bf16 a[212:215], v[192:195], v[124:127], a[212:215]// 00000000455C: D3B580D4 0752F9C0
	v_mfma_f32_16x16x32_bf16 a[216:219], v[192:195], v[128:131], a[216:219]// 000000004564: D3B580D8 076301C0
	v_mfma_f32_16x16x32_bf16 a[220:223], v[192:195], v[132:135], a[220:223]// 00000000456C: D3B580DC 077309C0
	v_mfma_f32_16x16x32_bf16 a[224:227], v[196:199], v[104:107], a[224:227]// 000000004574: D3B580E0 0782D1C4
	v_mfma_f32_16x16x32_bf16 a[228:231], v[196:199], v[108:111], a[228:231]// 00000000457C: D3B580E4 0792D9C4
	v_mfma_f32_16x16x32_bf16 a[232:235], v[196:199], v[112:115], a[232:235]// 000000004584: D3B580E8 07A2E1C4
	s_add_u32 s51, 0xc0, s49                                   // 00000000458C: 803331FF 000000C0
	s_cmp_lt_u32 s51, s50                                      // 000000004594: BF0A3233
	s_cselect_b32 s62, s62, 0                                  // 000000004598: 853E803E
	v_mfma_f32_16x16x32_bf16 a[236:239], v[196:199], v[116:119], a[236:239]// 00000000459C: D3B580EC 07B2E9C4
	s_add_u32 s12, s62, s12                                    // 0000000045A4: 800C0C3E
	s_addc_u32 s13, 0, s13                                     // 0000000045A8: 820D0D80
	s_sub_u32 s14, s14, s62                                    // 0000000045AC: 808E3E0E
	v_mfma_f32_16x16x32_bf16 a[240:243], v[196:199], v[120:123], a[240:243]// 0000000045B0: D3B580F0 07C2F1C4
	v_mfma_f32_16x16x32_bf16 a[244:247], v[196:199], v[124:127], a[244:247]// 0000000045B8: D3B580F4 07D2F9C4
	v_mfma_f32_16x16x32_bf16 a[248:251], v[196:199], v[128:131], a[248:251]// 0000000045C0: D3B580F8 07E301C4
	s_addk_i32 s49, 0x40                                       // 0000000045C8: B7310040
	s_cmp_lt_i32 s49, s50                                      // 0000000045CC: BF043231
	v_mfma_f32_16x16x32_bf16 a[252:255], v[196:199], v[132:135], a[252:255]// 0000000045D0: D3B580FC 07F309C4
	s_cbranch_scc0 label_0A08                                  // 0000000045D8: BF84030B
	s_branch label_03EE                                        // 0000000045DC: BF82FCF6

00000000000045e0 <label_06FE>:
	s_waitcnt vmcnt(8) lgkmcnt(0)                              // 0000000045E0: BF8C0078
	s_barrier                                                  // 0000000045E4: BF8A0000
	v_mfma_f32_16x16x32_bf16 a[0:3], v[136:139], v[8:11], a[0:3]// 0000000045E8: D3B58000 04021188
	ds_read_b128 v[72:75], v208 offset:16896                   // 0000000045F0: D9FE4200 480000D0
	v_mfma_f32_16x16x32_bf16 a[4:7], v[136:139], v[12:15], a[4:7]// 0000000045F8: D3B58004 04121988
	buffer_load_dwordx4 v[168:171], v210, s[16:19], 0 offen    // 000000004600: E05C1000 8004A8D2
	v_mfma_f32_16x16x32_bf16 a[8:11], v[136:139], v[16:19], a[8:11]// 000000004608: D3B58008 04222188
	ds_read_b128 v[104:107], v208 offset:16960                 // 000000004610: D9FE4240 680000D0
	v_mfma_f32_16x16x32_bf16 a[12:15], v[136:139], v[20:23], a[12:15]// 000000004618: D3B5800C 04322988
	v_mfma_f32_16x16x32_bf16 a[16:19], v[136:139], v[24:27], a[16:19]// 000000004620: D3B58010 04423188
	ds_read_b128 v[76:79], v208 offset:17408                   // 000000004628: D9FE4400 4C0000D0
	v_mfma_f32_16x16x32_bf16 a[20:23], v[136:139], v[28:31], a[20:23]// 000000004630: D3B58014 04523988
	buffer_load_dwordx4 v[172:175], v211, s[16:19], 0 offen    // 000000004638: E05C1000 8004ACD3
	v_mfma_f32_16x16x32_bf16 a[24:27], v[136:139], v[32:35], a[24:27]// 000000004640: D3B58018 04624188
	ds_read_b128 v[108:111], v208 offset:17472                 // 000000004648: D9FE4440 6C0000D0
	v_mfma_f32_16x16x32_bf16 a[28:31], v[136:139], v[36:39], a[28:31]// 000000004650: D3B5801C 04724988
	v_mfma_f32_16x16x32_bf16 a[32:35], v[140:143], v[8:11], a[32:35]// 000000004658: D3B58020 0482118C
	ds_read_b128 v[80:83], v208 offset:21120                   // 000000004660: D9FE5280 500000D0
	v_mfma_f32_16x16x32_bf16 a[36:39], v[140:143], v[12:15], a[36:39]// 000000004668: D3B58024 0492198C
	buffer_load_dwordx4 v[176:179], v212, s[16:19], 0 offen    // 000000004670: E05C1000 8004B0D4
	v_mfma_f32_16x16x32_bf16 a[40:43], v[140:143], v[16:19], a[40:43]// 000000004678: D3B58028 04A2218C
	ds_read_b128 v[112:115], v208 offset:21184                 // 000000004680: D9FE52C0 700000D0
	v_mfma_f32_16x16x32_bf16 a[44:47], v[140:143], v[20:23], a[44:47]// 000000004688: D3B5802C 04B2298C
	v_mfma_f32_16x16x32_bf16 a[48:51], v[140:143], v[24:27], a[48:51]// 000000004690: D3B58030 04C2318C
	ds_read_b128 v[84:87], v208 offset:21632                   // 000000004698: D9FE5480 540000D0
	v_mfma_f32_16x16x32_bf16 a[52:55], v[140:143], v[28:31], a[52:55]// 0000000046A0: D3B58034 04D2398C
	buffer_load_dwordx4 v[180:183], v213, s[16:19], 0 offen    // 0000000046A8: E05C1000 8004B4D5
	v_mfma_f32_16x16x32_bf16 a[56:59], v[140:143], v[32:35], a[56:59]// 0000000046B0: D3B58038 04E2418C
	ds_read_b128 v[116:119], v208 offset:21696                 // 0000000046B8: D9FE54C0 740000D0
	v_mfma_f32_16x16x32_bf16 a[60:63], v[140:143], v[36:39], a[60:63]// 0000000046C0: D3B5803C 04F2498C
	v_mfma_f32_16x16x32_bf16 a[64:67], v[144:147], v[8:11], a[64:67]// 0000000046C8: D3B58040 05021190
	ds_read_b128 v[88:91], v208 offset:25344                   // 0000000046D0: D9FE6300 580000D0
	v_mfma_f32_16x16x32_bf16 a[68:71], v[144:147], v[12:15], a[68:71]// 0000000046D8: D3B58044 05121990
	buffer_load_dwordx4 v[184:187], v214, s[16:19], 0 offen    // 0000000046E0: E05C1000 8004B8D6
	v_mfma_f32_16x16x32_bf16 a[72:75], v[144:147], v[16:19], a[72:75]// 0000000046E8: D3B58048 05222190
	ds_read_b128 v[120:123], v208 offset:25408                 // 0000000046F0: D9FE6340 780000D0
	v_mfma_f32_16x16x32_bf16 a[76:79], v[144:147], v[20:23], a[76:79]// 0000000046F8: D3B5804C 05322990
	v_mfma_f32_16x16x32_bf16 a[80:83], v[144:147], v[24:27], a[80:83]// 000000004700: D3B58050 05423190
	ds_read_b128 v[92:95], v208 offset:25856                   // 000000004708: D9FE6500 5C0000D0
	v_mfma_f32_16x16x32_bf16 a[84:87], v[144:147], v[28:31], a[84:87]// 000000004710: D3B58054 05523990
	buffer_load_dwordx4 v[188:191], v215, s[16:19], 0 offen    // 000000004718: E05C1000 8004BCD7
	v_mfma_f32_16x16x32_bf16 a[88:91], v[144:147], v[32:35], a[88:91]// 000000004720: D3B58058 05624190
	ds_read_b128 v[124:127], v208 offset:25920                 // 000000004728: D9FE6540 7C0000D0
	v_mfma_f32_16x16x32_bf16 a[92:95], v[144:147], v[36:39], a[92:95]// 000000004730: D3B5805C 05724990
	v_mfma_f32_16x16x32_bf16 a[96:99], v[148:151], v[8:11], a[96:99]// 000000004738: D3B58060 05821194
	ds_read_b128 v[96:99], v208 offset:29568                   // 000000004740: D9FE7380 600000D0
	v_mfma_f32_16x16x32_bf16 a[100:103], v[148:151], v[12:15], a[100:103]// 000000004748: D3B58064 05921994
	buffer_load_dwordx4 v[192:195], v216, s[16:19], 0 offen    // 000000004750: E05C1000 8004C0D8
	v_mfma_f32_16x16x32_bf16 a[104:107], v[148:151], v[16:19], a[104:107]// 000000004758: D3B58068 05A22194
	ds_read_b128 v[128:131], v208 offset:29632                 // 000000004760: D9FE73C0 800000D0
	v_mfma_f32_16x16x32_bf16 a[108:111], v[148:151], v[20:23], a[108:111]// 000000004768: D3B5806C 05B22994
	v_mfma_f32_16x16x32_bf16 a[112:115], v[148:151], v[24:27], a[112:115]// 000000004770: D3B58070 05C23194
	ds_read_b128 v[100:103], v208 offset:30080                 // 000000004778: D9FE7580 640000D0
	v_mfma_f32_16x16x32_bf16 a[116:119], v[148:151], v[28:31], a[116:119]// 000000004780: D3B58074 05D23994
	buffer_load_dwordx4 v[196:199], v217, s[16:19], 0 offen    // 000000004788: E05C1000 8004C4D9
	v_mfma_f32_16x16x32_bf16 a[120:123], v[148:151], v[32:35], a[120:123]// 000000004790: D3B58078 05E24194
	ds_read_b128 v[132:135], v208 offset:30144                 // 000000004798: D9FE75C0 840000D0
	v_mfma_f32_16x16x32_bf16 a[124:127], v[148:151], v[36:39], a[124:127]// 0000000047A0: D3B5807C 05F24994
	v_mfma_f32_16x16x32_bf16 a[0:3], v[152:155], v[40:43], a[0:3]// 0000000047A8: D3B58000 04025198
	v_mfma_f32_16x16x32_bf16 a[4:7], v[152:155], v[44:47], a[4:7]// 0000000047B0: D3B58004 04125998
	v_mfma_f32_16x16x32_bf16 a[8:11], v[152:155], v[48:51], a[8:11]// 0000000047B8: D3B58008 04226198
	v_mfma_f32_16x16x32_bf16 a[12:15], v[152:155], v[52:55], a[12:15]// 0000000047C0: D3B5800C 04326998
	v_mfma_f32_16x16x32_bf16 a[16:19], v[152:155], v[56:59], a[16:19]// 0000000047C8: D3B58010 04427198
	v_mfma_f32_16x16x32_bf16 a[20:23], v[152:155], v[60:63], a[20:23]// 0000000047D0: D3B58014 04527998
	v_mfma_f32_16x16x32_bf16 a[24:27], v[152:155], v[64:67], a[24:27]// 0000000047D8: D3B58018 04628198
	v_mfma_f32_16x16x32_bf16 a[28:31], v[152:155], v[68:71], a[28:31]// 0000000047E0: D3B5801C 04728998
	v_mfma_f32_16x16x32_bf16 a[32:35], v[156:159], v[40:43], a[32:35]// 0000000047E8: D3B58020 0482519C
	v_mfma_f32_16x16x32_bf16 a[36:39], v[156:159], v[44:47], a[36:39]// 0000000047F0: D3B58024 0492599C
	v_mfma_f32_16x16x32_bf16 a[40:43], v[156:159], v[48:51], a[40:43]// 0000000047F8: D3B58028 04A2619C
	v_mfma_f32_16x16x32_bf16 a[44:47], v[156:159], v[52:55], a[44:47]// 000000004800: D3B5802C 04B2699C
	v_mfma_f32_16x16x32_bf16 a[48:51], v[156:159], v[56:59], a[48:51]// 000000004808: D3B58030 04C2719C
	v_mfma_f32_16x16x32_bf16 a[52:55], v[156:159], v[60:63], a[52:55]// 000000004810: D3B58034 04D2799C
	v_mfma_f32_16x16x32_bf16 a[56:59], v[156:159], v[64:67], a[56:59]// 000000004818: D3B58038 04E2819C
	v_mfma_f32_16x16x32_bf16 a[60:63], v[156:159], v[68:71], a[60:63]// 000000004820: D3B5803C 04F2899C
	v_mfma_f32_16x16x32_bf16 a[64:67], v[160:163], v[40:43], a[64:67]// 000000004828: D3B58040 050251A0
	v_mfma_f32_16x16x32_bf16 a[68:71], v[160:163], v[44:47], a[68:71]// 000000004830: D3B58044 051259A0
	v_mfma_f32_16x16x32_bf16 a[72:75], v[160:163], v[48:51], a[72:75]// 000000004838: D3B58048 052261A0
	v_mfma_f32_16x16x32_bf16 a[76:79], v[160:163], v[52:55], a[76:79]// 000000004840: D3B5804C 053269A0
	v_mfma_f32_16x16x32_bf16 a[80:83], v[160:163], v[56:59], a[80:83]// 000000004848: D3B58050 054271A0
	v_mfma_f32_16x16x32_bf16 a[84:87], v[160:163], v[60:63], a[84:87]// 000000004850: D3B58054 055279A0
	v_mfma_f32_16x16x32_bf16 a[88:91], v[160:163], v[64:67], a[88:91]// 000000004858: D3B58058 056281A0
	v_mfma_f32_16x16x32_bf16 a[92:95], v[160:163], v[68:71], a[92:95]// 000000004860: D3B5805C 057289A0
	v_mfma_f32_16x16x32_bf16 a[96:99], v[164:167], v[40:43], a[96:99]// 000000004868: D3B58060 058251A4
	v_mfma_f32_16x16x32_bf16 a[100:103], v[164:167], v[44:47], a[100:103]// 000000004870: D3B58064 059259A4
	v_mfma_f32_16x16x32_bf16 a[104:107], v[164:167], v[48:51], a[104:107]// 000000004878: D3B58068 05A261A4
	v_mfma_f32_16x16x32_bf16 a[108:111], v[164:167], v[52:55], a[108:111]// 000000004880: D3B5806C 05B269A4
	s_add_u32 s52, 0x80, s49                                   // 000000004888: 803431FF 00000080
	s_cmp_lt_u32 s52, s50                                      // 000000004890: BF0A3234
	s_cselect_b32 s63, s63, 0                                  // 000000004894: 853F803F
	v_mfma_f32_16x16x32_bf16 a[112:115], v[164:167], v[56:59], a[112:115]// 000000004898: D3B58070 05C271A4
	v_mfma_f32_16x16x32_bf16 a[116:119], v[164:167], v[60:63], a[116:119]// 0000000048A0: D3B58074 05D279A4
	s_add_u32 s16, s63, s16                                    // 0000000048A8: 8010103F
	s_addc_u32 s17, 0, s17                                     // 0000000048AC: 82111180
	s_sub_u32 s18, s18, s63                                    // 0000000048B0: 80923F12
	v_mfma_f32_16x16x32_bf16 a[120:123], v[164:167], v[64:67], a[120:123]// 0000000048B4: D3B58078 05E281A4
	v_mfma_f32_16x16x32_bf16 a[124:127], v[164:167], v[68:71], a[124:127]// 0000000048BC: D3B5807C 05F289A4
	s_waitcnt vmcnt(12) lgkmcnt(0)                             // 0000000048C4: BF8C007C
	s_barrier                                                  // 0000000048C8: BF8A0000
	v_mfma_f32_16x16x32_bf16 a[128:131], v[136:139], v[72:75], a[128:131]// 0000000048CC: D3B58080 06029188
	ds_read_b128 v[8:11], v209                                 // 0000000048D4: D9FE0000 080000D1
	v_mfma_f32_16x16x32_bf16 a[132:135], v[136:139], v[76:79], a[132:135]// 0000000048DC: D3B58084 06129988
	s_add_u32 m0, 0, s60                                       // 0000000048E4: 807C3C80
	buffer_load_dwordx4 v200, s[12:15], 0 offen lds            // 0000000048E8: E05D1000 800300C8
	v_mfma_f32_16x16x32_bf16 a[136:139], v[136:139], v[80:83], a[136:139]// 0000000048F0: D3B58088 0622A188
	ds_read_b128 v[40:43], v209 offset:64                      // 0000000048F8: D9FE0040 280000D1
	v_mfma_f32_16x16x32_bf16 a[140:143], v[136:139], v[84:87], a[140:143]// 000000004900: D3B5808C 0632A988
	v_mfma_f32_16x16x32_bf16 a[144:147], v[136:139], v[88:91], a[144:147]// 000000004908: D3B58090 0642B188
	ds_read_b128 v[12:15], v209 offset:512                     // 000000004910: D9FE0200 0C0000D1
	v_mfma_f32_16x16x32_bf16 a[148:151], v[136:139], v[92:95], a[148:151]// 000000004918: D3B58094 0652B988
	s_add_u32 m0, 0x1080, s60                                  // 000000004920: 807C3CFF 00001080
	buffer_load_dwordx4 v201, s[12:15], 0 offen lds            // 000000004928: E05D1000 800300C9
	v_mfma_f32_16x16x32_bf16 a[152:155], v[136:139], v[96:99], a[152:155]// 000000004930: D3B58098 0662C188
	ds_read_b128 v[44:47], v209 offset:576                     // 000000004938: D9FE0240 2C0000D1
	v_mfma_f32_16x16x32_bf16 a[156:159], v[136:139], v[100:103], a[156:159]// 000000004940: D3B5809C 0672C988
	v_mfma_f32_16x16x32_bf16 a[160:163], v[140:143], v[72:75], a[160:163]// 000000004948: D3B580A0 0682918C
	ds_read_b128 v[16:19], v209 offset:4224                    // 000000004950: D9FE1080 100000D1
	v_mfma_f32_16x16x32_bf16 a[164:167], v[140:143], v[76:79], a[164:167]// 000000004958: D3B580A4 0692998C
	s_add_u32 m0, 0x2100, s60                                  // 000000004960: 807C3CFF 00002100
	buffer_load_dwordx4 v202, s[12:15], 0 offen lds            // 000000004968: E05D1000 800300CA
	v_mfma_f32_16x16x32_bf16 a[168:171], v[140:143], v[80:83], a[168:171]// 000000004970: D3B580A8 06A2A18C
	ds_read_b128 v[48:51], v209 offset:4288                    // 000000004978: D9FE10C0 300000D1
	v_mfma_f32_16x16x32_bf16 a[172:175], v[140:143], v[84:87], a[172:175]// 000000004980: D3B580AC 06B2A98C
	v_mfma_f32_16x16x32_bf16 a[176:179], v[140:143], v[88:91], a[176:179]// 000000004988: D3B580B0 06C2B18C
	ds_read_b128 v[20:23], v209 offset:4736                    // 000000004990: D9FE1280 140000D1
	v_mfma_f32_16x16x32_bf16 a[180:183], v[140:143], v[92:95], a[180:183]// 000000004998: D3B580B4 06D2B98C
	s_add_u32 m0, 0x3180, s60                                  // 0000000049A0: 807C3CFF 00003180
	buffer_load_dwordx4 v203, s[12:15], 0 offen lds            // 0000000049A8: E05D1000 800300CB
	v_mfma_f32_16x16x32_bf16 a[184:187], v[140:143], v[96:99], a[184:187]// 0000000049B0: D3B580B8 06E2C18C
	ds_read_b128 v[52:55], v209 offset:4800                    // 0000000049B8: D9FE12C0 340000D1
	v_mfma_f32_16x16x32_bf16 a[188:191], v[140:143], v[100:103], a[188:191]// 0000000049C0: D3B580BC 06F2C98C
	v_mfma_f32_16x16x32_bf16 a[192:195], v[144:147], v[72:75], a[192:195]// 0000000049C8: D3B580C0 07029190
	ds_read_b128 v[24:27], v209 offset:8448                    // 0000000049D0: D9FE2100 180000D1
	v_mfma_f32_16x16x32_bf16 a[196:199], v[144:147], v[76:79], a[196:199]// 0000000049D8: D3B580C4 07129990
	s_add_u32 m0, 0x4200, s60                                  // 0000000049E0: 807C3CFF 00004200
	buffer_load_dwordx4 v204, s[12:15], 0 offen lds            // 0000000049E8: E05D1000 800300CC
	v_mfma_f32_16x16x32_bf16 a[200:203], v[144:147], v[80:83], a[200:203]// 0000000049F0: D3B580C8 0722A190
	ds_read_b128 v[56:59], v209 offset:8512                    // 0000000049F8: D9FE2140 380000D1
	v_mfma_f32_16x16x32_bf16 a[204:207], v[144:147], v[84:87], a[204:207]// 000000004A00: D3B580CC 0732A990
	v_mfma_f32_16x16x32_bf16 a[208:211], v[144:147], v[88:91], a[208:211]// 000000004A08: D3B580D0 0742B190
	ds_read_b128 v[28:31], v209 offset:8960                    // 000000004A10: D9FE2300 1C0000D1
	v_mfma_f32_16x16x32_bf16 a[212:215], v[144:147], v[92:95], a[212:215]// 000000004A18: D3B580D4 0752B990
	s_add_u32 m0, 0x5280, s60                                  // 000000004A20: 807C3CFF 00005280
	buffer_load_dwordx4 v205, s[12:15], 0 offen lds            // 000000004A28: E05D1000 800300CD
	v_mfma_f32_16x16x32_bf16 a[216:219], v[144:147], v[96:99], a[216:219]// 000000004A30: D3B580D8 0762C190
	ds_read_b128 v[60:63], v209 offset:9024                    // 000000004A38: D9FE2340 3C0000D1
	v_mfma_f32_16x16x32_bf16 a[220:223], v[144:147], v[100:103], a[220:223]// 000000004A40: D3B580DC 0772C990
	v_mfma_f32_16x16x32_bf16 a[224:227], v[148:151], v[72:75], a[224:227]// 000000004A48: D3B580E0 07829194
	ds_read_b128 v[32:35], v209 offset:12672                   // 000000004A50: D9FE3180 200000D1
	v_mfma_f32_16x16x32_bf16 a[228:231], v[148:151], v[76:79], a[228:231]// 000000004A58: D3B580E4 07929994
	s_add_u32 m0, 0x6300, s60                                  // 000000004A60: 807C3CFF 00006300
	buffer_load_dwordx4 v206, s[12:15], 0 offen lds            // 000000004A68: E05D1000 800300CE
	v_mfma_f32_16x16x32_bf16 a[232:235], v[148:151], v[80:83], a[232:235]// 000000004A70: D3B580E8 07A2A194
	ds_read_b128 v[64:67], v209 offset:12736                   // 000000004A78: D9FE31C0 400000D1
	v_mfma_f32_16x16x32_bf16 a[236:239], v[148:151], v[84:87], a[236:239]// 000000004A80: D3B580EC 07B2A994
	v_mfma_f32_16x16x32_bf16 a[240:243], v[148:151], v[88:91], a[240:243]// 000000004A88: D3B580F0 07C2B194
	ds_read_b128 v[36:39], v209 offset:13184                   // 000000004A90: D9FE3380 240000D1
	v_mfma_f32_16x16x32_bf16 a[244:247], v[148:151], v[92:95], a[244:247]// 000000004A98: D3B580F4 07D2B994
	s_add_u32 m0, 0x7380, s60                                  // 000000004AA0: 807C3CFF 00007380
	buffer_load_dwordx4 v207, s[12:15], 0 offen lds            // 000000004AA8: E05D1000 800300CF
	v_mfma_f32_16x16x32_bf16 a[248:251], v[148:151], v[96:99], a[248:251]// 000000004AB0: D3B580F8 07E2C194
	ds_read_b128 v[68:71], v209 offset:13248                   // 000000004AB8: D9FE33C0 440000D1
	v_mfma_f32_16x16x32_bf16 a[252:255], v[148:151], v[100:103], a[252:255]// 000000004AC0: D3B580FC 07F2C994
	v_mfma_f32_16x16x32_bf16 a[128:131], v[152:155], v[104:107], a[128:131]// 000000004AC8: D3B58080 0602D198
	v_mfma_f32_16x16x32_bf16 a[132:135], v[152:155], v[108:111], a[132:135]// 000000004AD0: D3B58084 0612D998
	v_mfma_f32_16x16x32_bf16 a[136:139], v[152:155], v[112:115], a[136:139]// 000000004AD8: D3B58088 0622E198
	v_mfma_f32_16x16x32_bf16 a[140:143], v[152:155], v[116:119], a[140:143]// 000000004AE0: D3B5808C 0632E998
	v_mfma_f32_16x16x32_bf16 a[144:147], v[152:155], v[120:123], a[144:147]// 000000004AE8: D3B58090 0642F198
	v_mfma_f32_16x16x32_bf16 a[148:151], v[152:155], v[124:127], a[148:151]// 000000004AF0: D3B58094 0652F998
	v_mfma_f32_16x16x32_bf16 a[152:155], v[152:155], v[128:131], a[152:155]// 000000004AF8: D3B58098 06630198
	v_mfma_f32_16x16x32_bf16 a[156:159], v[152:155], v[132:135], a[156:159]// 000000004B00: D3B5809C 06730998
	v_mfma_f32_16x16x32_bf16 a[160:163], v[156:159], v[104:107], a[160:163]// 000000004B08: D3B580A0 0682D19C
	v_mfma_f32_16x16x32_bf16 a[164:167], v[156:159], v[108:111], a[164:167]// 000000004B10: D3B580A4 0692D99C
	v_mfma_f32_16x16x32_bf16 a[168:171], v[156:159], v[112:115], a[168:171]// 000000004B18: D3B580A8 06A2E19C
	v_mfma_f32_16x16x32_bf16 a[172:175], v[156:159], v[116:119], a[172:175]// 000000004B20: D3B580AC 06B2E99C
	v_mfma_f32_16x16x32_bf16 a[176:179], v[156:159], v[120:123], a[176:179]// 000000004B28: D3B580B0 06C2F19C
	v_mfma_f32_16x16x32_bf16 a[180:183], v[156:159], v[124:127], a[180:183]// 000000004B30: D3B580B4 06D2F99C
	v_mfma_f32_16x16x32_bf16 a[184:187], v[156:159], v[128:131], a[184:187]// 000000004B38: D3B580B8 06E3019C
	v_mfma_f32_16x16x32_bf16 a[188:191], v[156:159], v[132:135], a[188:191]// 000000004B40: D3B580BC 06F3099C
	v_mfma_f32_16x16x32_bf16 a[192:195], v[160:163], v[104:107], a[192:195]// 000000004B48: D3B580C0 0702D1A0
	v_mfma_f32_16x16x32_bf16 a[196:199], v[160:163], v[108:111], a[196:199]// 000000004B50: D3B580C4 0712D9A0
	v_mfma_f32_16x16x32_bf16 a[200:203], v[160:163], v[112:115], a[200:203]// 000000004B58: D3B580C8 0722E1A0
	v_mfma_f32_16x16x32_bf16 a[204:207], v[160:163], v[116:119], a[204:207]// 000000004B60: D3B580CC 0732E9A0
	v_mfma_f32_16x16x32_bf16 a[208:211], v[160:163], v[120:123], a[208:211]// 000000004B68: D3B580D0 0742F1A0
	v_mfma_f32_16x16x32_bf16 a[212:215], v[160:163], v[124:127], a[212:215]// 000000004B70: D3B580D4 0752F9A0
	v_mfma_f32_16x16x32_bf16 a[216:219], v[160:163], v[128:131], a[216:219]// 000000004B78: D3B580D8 076301A0
	v_mfma_f32_16x16x32_bf16 a[220:223], v[160:163], v[132:135], a[220:223]// 000000004B80: D3B580DC 077309A0
	v_mfma_f32_16x16x32_bf16 a[224:227], v[164:167], v[104:107], a[224:227]// 000000004B88: D3B580E0 0782D1A4
	v_mfma_f32_16x16x32_bf16 a[228:231], v[164:167], v[108:111], a[228:231]// 000000004B90: D3B580E4 0792D9A4
	v_mfma_f32_16x16x32_bf16 a[232:235], v[164:167], v[112:115], a[232:235]// 000000004B98: D3B580E8 07A2E1A4
	v_mfma_f32_16x16x32_bf16 a[236:239], v[164:167], v[116:119], a[236:239]// 000000004BA0: D3B580EC 07B2E9A4
	s_add_u32 s51, 0xc0, s49                                   // 000000004BA8: 803331FF 000000C0
	s_cmp_lt_u32 s51, s50                                      // 000000004BB0: BF0A3233
	s_cselect_b32 s62, s62, 0                                  // 000000004BB4: 853E803E
	v_mfma_f32_16x16x32_bf16 a[240:243], v[164:167], v[120:123], a[240:243]// 000000004BB8: D3B580F0 07C2F1A4
	s_add_u32 s12, s62, s12                                    // 000000004BC0: 800C0C3E
	s_addc_u32 s13, 0, s13                                     // 000000004BC4: 820D0D80
	s_sub_u32 s14, s14, s62                                    // 000000004BC8: 808E3E0E
	v_mfma_f32_16x16x32_bf16 a[244:247], v[164:167], v[124:127], a[244:247]// 000000004BCC: D3B580F4 07D2F9A4
	v_mfma_f32_16x16x32_bf16 a[248:251], v[164:167], v[128:131], a[248:251]// 000000004BD4: D3B580F8 07E301A4
	s_addk_i32 s49, 0x40                                       // 000000004BDC: B7310040
	s_cmp_lt_i32 s49, s50                                      // 000000004BE0: BF043231
	v_mfma_f32_16x16x32_bf16 a[252:255], v[164:167], v[132:135], a[252:255]// 000000004BE4: D3B580FC 07F309A4
	s_cbranch_scc0 label_0A08                                  // 000000004BEC: BF840186
	s_waitcnt vmcnt(8) lgkmcnt(0)                              // 000000004BF0: BF8C0078
	s_barrier                                                  // 000000004BF4: BF8A0000
	v_mfma_f32_16x16x32_bf16 a[0:3], v[168:171], v[8:11], a[0:3]// 000000004BF8: D3B58000 040211A8
	ds_read_b128 v[72:75], v209 offset:16896                   // 000000004C00: D9FE4200 480000D1
	v_mfma_f32_16x16x32_bf16 a[4:7], v[168:171], v[12:15], a[4:7]// 000000004C08: D3B58004 041219A8
	buffer_load_dwordx4 v[136:139], v210, s[16:19], 0 offen    // 000000004C10: E05C1000 800488D2
	v_mfma_f32_16x16x32_bf16 a[8:11], v[168:171], v[16:19], a[8:11]// 000000004C18: D3B58008 042221A8
	ds_read_b128 v[104:107], v209 offset:16960                 // 000000004C20: D9FE4240 680000D1
	v_mfma_f32_16x16x32_bf16 a[12:15], v[168:171], v[20:23], a[12:15]// 000000004C28: D3B5800C 043229A8
	v_mfma_f32_16x16x32_bf16 a[16:19], v[168:171], v[24:27], a[16:19]// 000000004C30: D3B58010 044231A8
	ds_read_b128 v[76:79], v209 offset:17408                   // 000000004C38: D9FE4400 4C0000D1
	v_mfma_f32_16x16x32_bf16 a[20:23], v[168:171], v[28:31], a[20:23]// 000000004C40: D3B58014 045239A8
	buffer_load_dwordx4 v[140:143], v211, s[16:19], 0 offen    // 000000004C48: E05C1000 80048CD3
	v_mfma_f32_16x16x32_bf16 a[24:27], v[168:171], v[32:35], a[24:27]// 000000004C50: D3B58018 046241A8
	ds_read_b128 v[108:111], v209 offset:17472                 // 000000004C58: D9FE4440 6C0000D1
	v_mfma_f32_16x16x32_bf16 a[28:31], v[168:171], v[36:39], a[28:31]// 000000004C60: D3B5801C 047249A8
	v_mfma_f32_16x16x32_bf16 a[32:35], v[172:175], v[8:11], a[32:35]// 000000004C68: D3B58020 048211AC
	ds_read_b128 v[80:83], v209 offset:21120                   // 000000004C70: D9FE5280 500000D1
	v_mfma_f32_16x16x32_bf16 a[36:39], v[172:175], v[12:15], a[36:39]// 000000004C78: D3B58024 049219AC
	buffer_load_dwordx4 v[144:147], v212, s[16:19], 0 offen    // 000000004C80: E05C1000 800490D4
	v_mfma_f32_16x16x32_bf16 a[40:43], v[172:175], v[16:19], a[40:43]// 000000004C88: D3B58028 04A221AC
	ds_read_b128 v[112:115], v209 offset:21184                 // 000000004C90: D9FE52C0 700000D1
	v_mfma_f32_16x16x32_bf16 a[44:47], v[172:175], v[20:23], a[44:47]// 000000004C98: D3B5802C 04B229AC
	v_mfma_f32_16x16x32_bf16 a[48:51], v[172:175], v[24:27], a[48:51]// 000000004CA0: D3B58030 04C231AC
	ds_read_b128 v[84:87], v209 offset:21632                   // 000000004CA8: D9FE5480 540000D1
	v_mfma_f32_16x16x32_bf16 a[52:55], v[172:175], v[28:31], a[52:55]// 000000004CB0: D3B58034 04D239AC
	buffer_load_dwordx4 v[148:151], v213, s[16:19], 0 offen    // 000000004CB8: E05C1000 800494D5
	v_mfma_f32_16x16x32_bf16 a[56:59], v[172:175], v[32:35], a[56:59]// 000000004CC0: D3B58038 04E241AC
	ds_read_b128 v[116:119], v209 offset:21696                 // 000000004CC8: D9FE54C0 740000D1
	v_mfma_f32_16x16x32_bf16 a[60:63], v[172:175], v[36:39], a[60:63]// 000000004CD0: D3B5803C 04F249AC
	v_mfma_f32_16x16x32_bf16 a[64:67], v[176:179], v[8:11], a[64:67]// 000000004CD8: D3B58040 050211B0
	ds_read_b128 v[88:91], v209 offset:25344                   // 000000004CE0: D9FE6300 580000D1
	v_mfma_f32_16x16x32_bf16 a[68:71], v[176:179], v[12:15], a[68:71]// 000000004CE8: D3B58044 051219B0
	buffer_load_dwordx4 v[152:155], v214, s[16:19], 0 offen    // 000000004CF0: E05C1000 800498D6
	v_mfma_f32_16x16x32_bf16 a[72:75], v[176:179], v[16:19], a[72:75]// 000000004CF8: D3B58048 052221B0
	ds_read_b128 v[120:123], v209 offset:25408                 // 000000004D00: D9FE6340 780000D1
	v_mfma_f32_16x16x32_bf16 a[76:79], v[176:179], v[20:23], a[76:79]// 000000004D08: D3B5804C 053229B0
	v_mfma_f32_16x16x32_bf16 a[80:83], v[176:179], v[24:27], a[80:83]// 000000004D10: D3B58050 054231B0
	ds_read_b128 v[92:95], v209 offset:25856                   // 000000004D18: D9FE6500 5C0000D1
	v_mfma_f32_16x16x32_bf16 a[84:87], v[176:179], v[28:31], a[84:87]// 000000004D20: D3B58054 055239B0
	buffer_load_dwordx4 v[156:159], v215, s[16:19], 0 offen    // 000000004D28: E05C1000 80049CD7
	v_mfma_f32_16x16x32_bf16 a[88:91], v[176:179], v[32:35], a[88:91]// 000000004D30: D3B58058 056241B0
	ds_read_b128 v[124:127], v209 offset:25920                 // 000000004D38: D9FE6540 7C0000D1
	v_mfma_f32_16x16x32_bf16 a[92:95], v[176:179], v[36:39], a[92:95]// 000000004D40: D3B5805C 057249B0
	v_mfma_f32_16x16x32_bf16 a[96:99], v[180:183], v[8:11], a[96:99]// 000000004D48: D3B58060 058211B4
	ds_read_b128 v[96:99], v209 offset:29568                   // 000000004D50: D9FE7380 600000D1
	v_mfma_f32_16x16x32_bf16 a[100:103], v[180:183], v[12:15], a[100:103]// 000000004D58: D3B58064 059219B4
	buffer_load_dwordx4 v[160:163], v216, s[16:19], 0 offen    // 000000004D60: E05C1000 8004A0D8
	v_mfma_f32_16x16x32_bf16 a[104:107], v[180:183], v[16:19], a[104:107]// 000000004D68: D3B58068 05A221B4
	ds_read_b128 v[128:131], v209 offset:29632                 // 000000004D70: D9FE73C0 800000D1
	v_mfma_f32_16x16x32_bf16 a[108:111], v[180:183], v[20:23], a[108:111]// 000000004D78: D3B5806C 05B229B4
	v_mfma_f32_16x16x32_bf16 a[112:115], v[180:183], v[24:27], a[112:115]// 000000004D80: D3B58070 05C231B4
	ds_read_b128 v[100:103], v209 offset:30080                 // 000000004D88: D9FE7580 640000D1
	v_mfma_f32_16x16x32_bf16 a[116:119], v[180:183], v[28:31], a[116:119]// 000000004D90: D3B58074 05D239B4
	buffer_load_dwordx4 v[164:167], v217, s[16:19], 0 offen    // 000000004D98: E05C1000 8004A4D9
	v_mfma_f32_16x16x32_bf16 a[120:123], v[180:183], v[32:35], a[120:123]// 000000004DA0: D3B58078 05E241B4
	ds_read_b128 v[132:135], v209 offset:30144                 // 000000004DA8: D9FE75C0 840000D1
	v_mfma_f32_16x16x32_bf16 a[124:127], v[180:183], v[36:39], a[124:127]// 000000004DB0: D3B5807C 05F249B4
	v_mfma_f32_16x16x32_bf16 a[0:3], v[184:187], v[40:43], a[0:3]// 000000004DB8: D3B58000 040251B8
	v_mfma_f32_16x16x32_bf16 a[4:7], v[184:187], v[44:47], a[4:7]// 000000004DC0: D3B58004 041259B8
	v_mfma_f32_16x16x32_bf16 a[8:11], v[184:187], v[48:51], a[8:11]// 000000004DC8: D3B58008 042261B8
	v_mfma_f32_16x16x32_bf16 a[12:15], v[184:187], v[52:55], a[12:15]// 000000004DD0: D3B5800C 043269B8
	v_mfma_f32_16x16x32_bf16 a[16:19], v[184:187], v[56:59], a[16:19]// 000000004DD8: D3B58010 044271B8
	v_mfma_f32_16x16x32_bf16 a[20:23], v[184:187], v[60:63], a[20:23]// 000000004DE0: D3B58014 045279B8
	v_mfma_f32_16x16x32_bf16 a[24:27], v[184:187], v[64:67], a[24:27]// 000000004DE8: D3B58018 046281B8
	v_mfma_f32_16x16x32_bf16 a[28:31], v[184:187], v[68:71], a[28:31]// 000000004DF0: D3B5801C 047289B8
	v_mfma_f32_16x16x32_bf16 a[32:35], v[188:191], v[40:43], a[32:35]// 000000004DF8: D3B58020 048251BC
	v_mfma_f32_16x16x32_bf16 a[36:39], v[188:191], v[44:47], a[36:39]// 000000004E00: D3B58024 049259BC
	v_mfma_f32_16x16x32_bf16 a[40:43], v[188:191], v[48:51], a[40:43]// 000000004E08: D3B58028 04A261BC
	v_mfma_f32_16x16x32_bf16 a[44:47], v[188:191], v[52:55], a[44:47]// 000000004E10: D3B5802C 04B269BC
	v_mfma_f32_16x16x32_bf16 a[48:51], v[188:191], v[56:59], a[48:51]// 000000004E18: D3B58030 04C271BC
	v_mfma_f32_16x16x32_bf16 a[52:55], v[188:191], v[60:63], a[52:55]// 000000004E20: D3B58034 04D279BC
	v_mfma_f32_16x16x32_bf16 a[56:59], v[188:191], v[64:67], a[56:59]// 000000004E28: D3B58038 04E281BC
	v_mfma_f32_16x16x32_bf16 a[60:63], v[188:191], v[68:71], a[60:63]// 000000004E30: D3B5803C 04F289BC
	v_mfma_f32_16x16x32_bf16 a[64:67], v[192:195], v[40:43], a[64:67]// 000000004E38: D3B58040 050251C0
	v_mfma_f32_16x16x32_bf16 a[68:71], v[192:195], v[44:47], a[68:71]// 000000004E40: D3B58044 051259C0
	v_mfma_f32_16x16x32_bf16 a[72:75], v[192:195], v[48:51], a[72:75]// 000000004E48: D3B58048 052261C0
	v_mfma_f32_16x16x32_bf16 a[76:79], v[192:195], v[52:55], a[76:79]// 000000004E50: D3B5804C 053269C0
	v_mfma_f32_16x16x32_bf16 a[80:83], v[192:195], v[56:59], a[80:83]// 000000004E58: D3B58050 054271C0
	v_mfma_f32_16x16x32_bf16 a[84:87], v[192:195], v[60:63], a[84:87]// 000000004E60: D3B58054 055279C0
	v_mfma_f32_16x16x32_bf16 a[88:91], v[192:195], v[64:67], a[88:91]// 000000004E68: D3B58058 056281C0
	v_mfma_f32_16x16x32_bf16 a[92:95], v[192:195], v[68:71], a[92:95]// 000000004E70: D3B5805C 057289C0
	v_mfma_f32_16x16x32_bf16 a[96:99], v[196:199], v[40:43], a[96:99]// 000000004E78: D3B58060 058251C4
	v_mfma_f32_16x16x32_bf16 a[100:103], v[196:199], v[44:47], a[100:103]// 000000004E80: D3B58064 059259C4
	v_mfma_f32_16x16x32_bf16 a[104:107], v[196:199], v[48:51], a[104:107]// 000000004E88: D3B58068 05A261C4
	v_mfma_f32_16x16x32_bf16 a[108:111], v[196:199], v[52:55], a[108:111]// 000000004E90: D3B5806C 05B269C4
	s_add_u32 s52, 0x80, s49                                   // 000000004E98: 803431FF 00000080
	s_cmp_lt_u32 s52, s50                                      // 000000004EA0: BF0A3234
	s_cselect_b32 s63, s63, 0                                  // 000000004EA4: 853F803F
	v_mfma_f32_16x16x32_bf16 a[112:115], v[196:199], v[56:59], a[112:115]// 000000004EA8: D3B58070 05C271C4
	v_mfma_f32_16x16x32_bf16 a[116:119], v[196:199], v[60:63], a[116:119]// 000000004EB0: D3B58074 05D279C4
	s_add_u32 s16, s63, s16                                    // 000000004EB8: 8010103F
	s_addc_u32 s17, 0, s17                                     // 000000004EBC: 82111180
	s_sub_u32 s18, s18, s63                                    // 000000004EC0: 80923F12
	v_mfma_f32_16x16x32_bf16 a[120:123], v[196:199], v[64:67], a[120:123]// 000000004EC4: D3B58078 05E281C4
	v_mfma_f32_16x16x32_bf16 a[124:127], v[196:199], v[68:71], a[124:127]// 000000004ECC: D3B5807C 05F289C4
	s_waitcnt vmcnt(12) lgkmcnt(0)                             // 000000004ED4: BF8C007C
	s_barrier                                                  // 000000004ED8: BF8A0000
	v_mfma_f32_16x16x32_bf16 a[128:131], v[168:171], v[72:75], a[128:131]// 000000004EDC: D3B58080 060291A8
	ds_read_b128 v[8:11], v208                                 // 000000004EE4: D9FE0000 080000D0
	v_mfma_f32_16x16x32_bf16 a[132:135], v[168:171], v[76:79], a[132:135]// 000000004EEC: D3B58084 061299A8
	s_add_u32 m0, 0x8400, s60                                  // 000000004EF4: 807C3CFF 00008400
	buffer_load_dwordx4 v200, s[12:15], 0 offen lds            // 000000004EFC: E05D1000 800300C8
	v_mfma_f32_16x16x32_bf16 a[136:139], v[168:171], v[80:83], a[136:139]// 000000004F04: D3B58088 0622A1A8
	ds_read_b128 v[40:43], v208 offset:64                      // 000000004F0C: D9FE0040 280000D0
	v_mfma_f32_16x16x32_bf16 a[140:143], v[168:171], v[84:87], a[140:143]// 000000004F14: D3B5808C 0632A9A8
	v_mfma_f32_16x16x32_bf16 a[144:147], v[168:171], v[88:91], a[144:147]// 000000004F1C: D3B58090 0642B1A8
	ds_read_b128 v[12:15], v208 offset:512                     // 000000004F24: D9FE0200 0C0000D0
	v_mfma_f32_16x16x32_bf16 a[148:151], v[168:171], v[92:95], a[148:151]// 000000004F2C: D3B58094 0652B9A8
	s_add_u32 m0, 0x9480, s60                                  // 000000004F34: 807C3CFF 00009480
	buffer_load_dwordx4 v201, s[12:15], 0 offen lds            // 000000004F3C: E05D1000 800300C9
	v_mfma_f32_16x16x32_bf16 a[152:155], v[168:171], v[96:99], a[152:155]// 000000004F44: D3B58098 0662C1A8
	ds_read_b128 v[44:47], v208 offset:576                     // 000000004F4C: D9FE0240 2C0000D0
	v_mfma_f32_16x16x32_bf16 a[156:159], v[168:171], v[100:103], a[156:159]// 000000004F54: D3B5809C 0672C9A8
	v_mfma_f32_16x16x32_bf16 a[160:163], v[172:175], v[72:75], a[160:163]// 000000004F5C: D3B580A0 068291AC
	ds_read_b128 v[16:19], v208 offset:4224                    // 000000004F64: D9FE1080 100000D0
	v_mfma_f32_16x16x32_bf16 a[164:167], v[172:175], v[76:79], a[164:167]// 000000004F6C: D3B580A4 069299AC
	s_add_u32 m0, 0xa500, s60                                  // 000000004F74: 807C3CFF 0000A500
	buffer_load_dwordx4 v202, s[12:15], 0 offen lds            // 000000004F7C: E05D1000 800300CA
	v_mfma_f32_16x16x32_bf16 a[168:171], v[172:175], v[80:83], a[168:171]// 000000004F84: D3B580A8 06A2A1AC
	ds_read_b128 v[48:51], v208 offset:4288                    // 000000004F8C: D9FE10C0 300000D0
	v_mfma_f32_16x16x32_bf16 a[172:175], v[172:175], v[84:87], a[172:175]// 000000004F94: D3B580AC 06B2A9AC
	v_mfma_f32_16x16x32_bf16 a[176:179], v[172:175], v[88:91], a[176:179]// 000000004F9C: D3B580B0 06C2B1AC
	ds_read_b128 v[20:23], v208 offset:4736                    // 000000004FA4: D9FE1280 140000D0
	v_mfma_f32_16x16x32_bf16 a[180:183], v[172:175], v[92:95], a[180:183]// 000000004FAC: D3B580B4 06D2B9AC
	s_add_u32 m0, 0xb580, s60                                  // 000000004FB4: 807C3CFF 0000B580
	buffer_load_dwordx4 v203, s[12:15], 0 offen lds            // 000000004FBC: E05D1000 800300CB
	v_mfma_f32_16x16x32_bf16 a[184:187], v[172:175], v[96:99], a[184:187]// 000000004FC4: D3B580B8 06E2C1AC
	ds_read_b128 v[52:55], v208 offset:4800                    // 000000004FCC: D9FE12C0 340000D0
	v_mfma_f32_16x16x32_bf16 a[188:191], v[172:175], v[100:103], a[188:191]// 000000004FD4: D3B580BC 06F2C9AC
	v_mfma_f32_16x16x32_bf16 a[192:195], v[176:179], v[72:75], a[192:195]// 000000004FDC: D3B580C0 070291B0
	ds_read_b128 v[24:27], v208 offset:8448                    // 000000004FE4: D9FE2100 180000D0
	v_mfma_f32_16x16x32_bf16 a[196:199], v[176:179], v[76:79], a[196:199]// 000000004FEC: D3B580C4 071299B0
	s_add_u32 m0, 0xc600, s60                                  // 000000004FF4: 807C3CFF 0000C600
	buffer_load_dwordx4 v204, s[12:15], 0 offen lds            // 000000004FFC: E05D1000 800300CC
	v_mfma_f32_16x16x32_bf16 a[200:203], v[176:179], v[80:83], a[200:203]// 000000005004: D3B580C8 0722A1B0
	ds_read_b128 v[56:59], v208 offset:8512                    // 00000000500C: D9FE2140 380000D0
	v_mfma_f32_16x16x32_bf16 a[204:207], v[176:179], v[84:87], a[204:207]// 000000005014: D3B580CC 0732A9B0
	v_mfma_f32_16x16x32_bf16 a[208:211], v[176:179], v[88:91], a[208:211]// 00000000501C: D3B580D0 0742B1B0
	ds_read_b128 v[28:31], v208 offset:8960                    // 000000005024: D9FE2300 1C0000D0
	v_mfma_f32_16x16x32_bf16 a[212:215], v[176:179], v[92:95], a[212:215]// 00000000502C: D3B580D4 0752B9B0
	s_add_u32 m0, 0xd680, s60                                  // 000000005034: 807C3CFF 0000D680
	buffer_load_dwordx4 v205, s[12:15], 0 offen lds            // 00000000503C: E05D1000 800300CD
	v_mfma_f32_16x16x32_bf16 a[216:219], v[176:179], v[96:99], a[216:219]// 000000005044: D3B580D8 0762C1B0
	ds_read_b128 v[60:63], v208 offset:9024                    // 00000000504C: D9FE2340 3C0000D0
	v_mfma_f32_16x16x32_bf16 a[220:223], v[176:179], v[100:103], a[220:223]// 000000005054: D3B580DC 0772C9B0
	v_mfma_f32_16x16x32_bf16 a[224:227], v[180:183], v[72:75], a[224:227]// 00000000505C: D3B580E0 078291B4
	ds_read_b128 v[32:35], v208 offset:12672                   // 000000005064: D9FE3180 200000D0
	v_mfma_f32_16x16x32_bf16 a[228:231], v[180:183], v[76:79], a[228:231]// 00000000506C: D3B580E4 079299B4
	s_add_u32 m0, 0xe700, s60                                  // 000000005074: 807C3CFF 0000E700
	buffer_load_dwordx4 v206, s[12:15], 0 offen lds            // 00000000507C: E05D1000 800300CE
	v_mfma_f32_16x16x32_bf16 a[232:235], v[180:183], v[80:83], a[232:235]// 000000005084: D3B580E8 07A2A1B4
	ds_read_b128 v[64:67], v208 offset:12736                   // 00000000508C: D9FE31C0 400000D0
	v_mfma_f32_16x16x32_bf16 a[236:239], v[180:183], v[84:87], a[236:239]// 000000005094: D3B580EC 07B2A9B4
	v_mfma_f32_16x16x32_bf16 a[240:243], v[180:183], v[88:91], a[240:243]// 00000000509C: D3B580F0 07C2B1B4
	ds_read_b128 v[36:39], v208 offset:13184                   // 0000000050A4: D9FE3380 240000D0
	v_mfma_f32_16x16x32_bf16 a[244:247], v[180:183], v[92:95], a[244:247]// 0000000050AC: D3B580F4 07D2B9B4
	s_add_u32 m0, 0xf780, s60                                  // 0000000050B4: 807C3CFF 0000F780
	buffer_load_dwordx4 v207, s[12:15], 0 offen lds            // 0000000050BC: E05D1000 800300CF
	v_mfma_f32_16x16x32_bf16 a[248:251], v[180:183], v[96:99], a[248:251]// 0000000050C4: D3B580F8 07E2C1B4
	ds_read_b128 v[68:71], v208 offset:13248                   // 0000000050CC: D9FE33C0 440000D0
	v_mfma_f32_16x16x32_bf16 a[252:255], v[180:183], v[100:103], a[252:255]// 0000000050D4: D3B580FC 07F2C9B4
	v_mfma_f32_16x16x32_bf16 a[128:131], v[184:187], v[104:107], a[128:131]// 0000000050DC: D3B58080 0602D1B8
	v_mfma_f32_16x16x32_bf16 a[132:135], v[184:187], v[108:111], a[132:135]// 0000000050E4: D3B58084 0612D9B8
	v_mfma_f32_16x16x32_bf16 a[136:139], v[184:187], v[112:115], a[136:139]// 0000000050EC: D3B58088 0622E1B8
	v_mfma_f32_16x16x32_bf16 a[140:143], v[184:187], v[116:119], a[140:143]// 0000000050F4: D3B5808C 0632E9B8
	v_mfma_f32_16x16x32_bf16 a[144:147], v[184:187], v[120:123], a[144:147]// 0000000050FC: D3B58090 0642F1B8
	v_mfma_f32_16x16x32_bf16 a[148:151], v[184:187], v[124:127], a[148:151]// 000000005104: D3B58094 0652F9B8
	v_mfma_f32_16x16x32_bf16 a[152:155], v[184:187], v[128:131], a[152:155]// 00000000510C: D3B58098 066301B8
	v_mfma_f32_16x16x32_bf16 a[156:159], v[184:187], v[132:135], a[156:159]// 000000005114: D3B5809C 067309B8
	v_mfma_f32_16x16x32_bf16 a[160:163], v[188:191], v[104:107], a[160:163]// 00000000511C: D3B580A0 0682D1BC
	v_mfma_f32_16x16x32_bf16 a[164:167], v[188:191], v[108:111], a[164:167]// 000000005124: D3B580A4 0692D9BC
	v_mfma_f32_16x16x32_bf16 a[168:171], v[188:191], v[112:115], a[168:171]// 00000000512C: D3B580A8 06A2E1BC
	v_mfma_f32_16x16x32_bf16 a[172:175], v[188:191], v[116:119], a[172:175]// 000000005134: D3B580AC 06B2E9BC
	v_mfma_f32_16x16x32_bf16 a[176:179], v[188:191], v[120:123], a[176:179]// 00000000513C: D3B580B0 06C2F1BC
	v_mfma_f32_16x16x32_bf16 a[180:183], v[188:191], v[124:127], a[180:183]// 000000005144: D3B580B4 06D2F9BC
	v_mfma_f32_16x16x32_bf16 a[184:187], v[188:191], v[128:131], a[184:187]// 00000000514C: D3B580B8 06E301BC
	v_mfma_f32_16x16x32_bf16 a[188:191], v[188:191], v[132:135], a[188:191]// 000000005154: D3B580BC 06F309BC
	v_mfma_f32_16x16x32_bf16 a[192:195], v[192:195], v[104:107], a[192:195]// 00000000515C: D3B580C0 0702D1C0
	v_mfma_f32_16x16x32_bf16 a[196:199], v[192:195], v[108:111], a[196:199]// 000000005164: D3B580C4 0712D9C0
	v_mfma_f32_16x16x32_bf16 a[200:203], v[192:195], v[112:115], a[200:203]// 00000000516C: D3B580C8 0722E1C0
	v_mfma_f32_16x16x32_bf16 a[204:207], v[192:195], v[116:119], a[204:207]// 000000005174: D3B580CC 0732E9C0
	v_mfma_f32_16x16x32_bf16 a[208:211], v[192:195], v[120:123], a[208:211]// 00000000517C: D3B580D0 0742F1C0
	v_mfma_f32_16x16x32_bf16 a[212:215], v[192:195], v[124:127], a[212:215]// 000000005184: D3B580D4 0752F9C0
	v_mfma_f32_16x16x32_bf16 a[216:219], v[192:195], v[128:131], a[216:219]// 00000000518C: D3B580D8 076301C0
	v_mfma_f32_16x16x32_bf16 a[220:223], v[192:195], v[132:135], a[220:223]// 000000005194: D3B580DC 077309C0
	v_mfma_f32_16x16x32_bf16 a[224:227], v[196:199], v[104:107], a[224:227]// 00000000519C: D3B580E0 0782D1C4
	v_mfma_f32_16x16x32_bf16 a[228:231], v[196:199], v[108:111], a[228:231]// 0000000051A4: D3B580E4 0792D9C4
	v_mfma_f32_16x16x32_bf16 a[232:235], v[196:199], v[112:115], a[232:235]// 0000000051AC: D3B580E8 07A2E1C4
	v_mfma_f32_16x16x32_bf16 a[236:239], v[196:199], v[116:119], a[236:239]// 0000000051B4: D3B580EC 07B2E9C4
	s_add_u32 s51, 0xc0, s49                                   // 0000000051BC: 803331FF 000000C0
	s_cmp_lt_u32 s51, s50                                      // 0000000051C4: BF0A3233
	s_cselect_b32 s62, s62, 0                                  // 0000000051C8: 853E803E
	v_mfma_f32_16x16x32_bf16 a[240:243], v[196:199], v[120:123], a[240:243]// 0000000051CC: D3B580F0 07C2F1C4
	s_add_u32 s12, s62, s12                                    // 0000000051D4: 800C0C3E
	s_addc_u32 s13, 0, s13                                     // 0000000051D8: 820D0D80
	s_sub_u32 s14, s14, s62                                    // 0000000051DC: 808E3E0E
	v_mfma_f32_16x16x32_bf16 a[244:247], v[196:199], v[124:127], a[244:247]// 0000000051E0: D3B580F4 07D2F9C4
	v_mfma_f32_16x16x32_bf16 a[248:251], v[196:199], v[128:131], a[248:251]// 0000000051E8: D3B580F8 07E301C4
	s_addk_i32 s49, 0x40                                       // 0000000051F0: B7310040
	s_cmp_lt_i32 s49, s50                                      // 0000000051F4: BF043231
	v_mfma_f32_16x16x32_bf16 a[252:255], v[196:199], v[132:135], a[252:255]// 0000000051F8: D3B580FC 07F309C4
	s_cbranch_scc0 label_0A08                                  // 000000005200: BF840001
	s_branch label_06FE                                        // 000000005204: BF82FCF6

0000000000005208 <label_0A08>:
	s_mov_b32 s49, 0                                           // 000000005208: BEB10080
	s_mul_i32 s50, 16, s47                                     // 00000000520C: 92322F90
	s_add_u32 s52, s43, 15                                     // 000000005210: 80348F2B
	s_lshr_b32 s52, s52, 4                                     // 000000005214: 8F348434
	s_sub_u32 s50, s52, s50                                    // 000000005218: 80B23234
	s_waitcnt vmcnt(0) lgkmcnt(0)                              // 00000000521C: BF8C0070
	s_barrier                                                  // 000000005220: BF8A0000
	s_cmp_lt_u32 s59, 1                                        // 000000005224: BF0A813B
	s_cbranch_scc0 label_0D52                                  // 000000005228: BF840341
	v_accvgpr_read_b32 v8, a0                                  // 00000000522C: D3D84008 18000100
	v_accvgpr_read_b32 v9, a1                                  // 000000005234: D3D84009 18000101
	v_accvgpr_read_b32 v10, a2                                 // 00000000523C: D3D8400A 18000102
	v_accvgpr_read_b32 v11, a3                                 // 000000005244: D3D8400B 18000103
	buffer_store_dwordx4 v[8:11], v220, s[4:7], 0 offen        // 00000000524C: E07C1000 800108DC
	v_add_i32 v220, v220, 64                                   // 000000005254: D29C00DC 000181DC
	s_waitcnt vmcnt(0) expcnt(0) lgkmcnt(0)                    // 00000000525C: BF8C0000
	v_accvgpr_read_b32 v8, a32                                 // 000000005260: D3D84008 18000120
	v_accvgpr_read_b32 v9, a33                                 // 000000005268: D3D84009 18000121
	v_accvgpr_read_b32 v10, a34                                // 000000005270: D3D8400A 18000122
	v_accvgpr_read_b32 v11, a35                                // 000000005278: D3D8400B 18000123
	buffer_store_dwordx4 v[8:11], v220, s[4:7], 0 offen        // 000000005280: E07C1000 800108DC
	v_add_i32 v220, v220, 64                                   // 000000005288: D29C00DC 000181DC
	s_waitcnt vmcnt(0) expcnt(0) lgkmcnt(0)                    // 000000005290: BF8C0000
	v_accvgpr_read_b32 v8, a64                                 // 000000005294: D3D84008 18000140
	v_accvgpr_read_b32 v9, a65                                 // 00000000529C: D3D84009 18000141
	v_accvgpr_read_b32 v10, a66                                // 0000000052A4: D3D8400A 18000142
	v_accvgpr_read_b32 v11, a67                                // 0000000052AC: D3D8400B 18000143
	buffer_store_dwordx4 v[8:11], v220, s[4:7], 0 offen        // 0000000052B4: E07C1000 800108DC
	v_add_i32 v220, v220, 64                                   // 0000000052BC: D29C00DC 000181DC
	s_waitcnt vmcnt(0) expcnt(0) lgkmcnt(0)                    // 0000000052C4: BF8C0000
	v_accvgpr_read_b32 v8, a96                                 // 0000000052C8: D3D84008 18000160
	v_accvgpr_read_b32 v9, a97                                 // 0000000052D0: D3D84009 18000161
	v_accvgpr_read_b32 v10, a98                                // 0000000052D8: D3D8400A 18000162
	v_accvgpr_read_b32 v11, a99                                // 0000000052E0: D3D8400B 18000163
	buffer_store_dwordx4 v[8:11], v220, s[4:7], 0 offen        // 0000000052E8: E07C1000 800108DC
	v_add_i32 v220, v220, 64                                   // 0000000052F0: D29C00DC 000181DC
	s_waitcnt vmcnt(0) expcnt(0) lgkmcnt(0)                    // 0000000052F8: BF8C0000
	v_accvgpr_read_b32 v8, a4                                  // 0000000052FC: D3D84008 18000104
	v_accvgpr_read_b32 v9, a5                                  // 000000005304: D3D84009 18000105
	v_accvgpr_read_b32 v10, a6                                 // 00000000530C: D3D8400A 18000106
	v_accvgpr_read_b32 v11, a7                                 // 000000005314: D3D8400B 18000107
	buffer_store_dwordx4 v[8:11], v221, s[4:7], 0 offen        // 00000000531C: E07C1000 800108DD
	v_add_i32 v221, v221, 64                                   // 000000005324: D29C00DD 000181DD
	s_waitcnt vmcnt(0) expcnt(0) lgkmcnt(0)                    // 00000000532C: BF8C0000
	v_accvgpr_read_b32 v8, a36                                 // 000000005330: D3D84008 18000124
	v_accvgpr_read_b32 v9, a37                                 // 000000005338: D3D84009 18000125
	v_accvgpr_read_b32 v10, a38                                // 000000005340: D3D8400A 18000126
	v_accvgpr_read_b32 v11, a39                                // 000000005348: D3D8400B 18000127
	buffer_store_dwordx4 v[8:11], v221, s[4:7], 0 offen        // 000000005350: E07C1000 800108DD
	v_add_i32 v221, v221, 64                                   // 000000005358: D29C00DD 000181DD
	s_waitcnt vmcnt(0) expcnt(0) lgkmcnt(0)                    // 000000005360: BF8C0000
	v_accvgpr_read_b32 v8, a68                                 // 000000005364: D3D84008 18000144
	v_accvgpr_read_b32 v9, a69                                 // 00000000536C: D3D84009 18000145
	v_accvgpr_read_b32 v10, a70                                // 000000005374: D3D8400A 18000146
	v_accvgpr_read_b32 v11, a71                                // 00000000537C: D3D8400B 18000147
	buffer_store_dwordx4 v[8:11], v221, s[4:7], 0 offen        // 000000005384: E07C1000 800108DD
	v_add_i32 v221, v221, 64                                   // 00000000538C: D29C00DD 000181DD
	s_waitcnt vmcnt(0) expcnt(0) lgkmcnt(0)                    // 000000005394: BF8C0000
	v_accvgpr_read_b32 v8, a100                                // 000000005398: D3D84008 18000164
	v_accvgpr_read_b32 v9, a101                                // 0000000053A0: D3D84009 18000165
	v_accvgpr_read_b32 v10, a102                               // 0000000053A8: D3D8400A 18000166
	v_accvgpr_read_b32 v11, a103                               // 0000000053B0: D3D8400B 18000167
	buffer_store_dwordx4 v[8:11], v221, s[4:7], 0 offen        // 0000000053B8: E07C1000 800108DD
	v_add_i32 v221, v221, 64                                   // 0000000053C0: D29C00DD 000181DD
	s_waitcnt vmcnt(0) expcnt(0) lgkmcnt(0)                    // 0000000053C8: BF8C0000
	v_accvgpr_read_b32 v8, a8                                  // 0000000053CC: D3D84008 18000108
	v_accvgpr_read_b32 v9, a9                                  // 0000000053D4: D3D84009 18000109
	v_accvgpr_read_b32 v10, a10                                // 0000000053DC: D3D8400A 1800010A
	v_accvgpr_read_b32 v11, a11                                // 0000000053E4: D3D8400B 1800010B
	buffer_store_dwordx4 v[8:11], v222, s[4:7], 0 offen        // 0000000053EC: E07C1000 800108DE
	v_add_i32 v222, v222, 64                                   // 0000000053F4: D29C00DE 000181DE
	s_waitcnt vmcnt(0) expcnt(0) lgkmcnt(0)                    // 0000000053FC: BF8C0000
	v_accvgpr_read_b32 v8, a40                                 // 000000005400: D3D84008 18000128
	v_accvgpr_read_b32 v9, a41                                 // 000000005408: D3D84009 18000129
	v_accvgpr_read_b32 v10, a42                                // 000000005410: D3D8400A 1800012A
	v_accvgpr_read_b32 v11, a43                                // 000000005418: D3D8400B 1800012B
	buffer_store_dwordx4 v[8:11], v222, s[4:7], 0 offen        // 000000005420: E07C1000 800108DE
	v_add_i32 v222, v222, 64                                   // 000000005428: D29C00DE 000181DE
	s_waitcnt vmcnt(0) expcnt(0) lgkmcnt(0)                    // 000000005430: BF8C0000
	v_accvgpr_read_b32 v8, a72                                 // 000000005434: D3D84008 18000148
	v_accvgpr_read_b32 v9, a73                                 // 00000000543C: D3D84009 18000149
	v_accvgpr_read_b32 v10, a74                                // 000000005444: D3D8400A 1800014A
	v_accvgpr_read_b32 v11, a75                                // 00000000544C: D3D8400B 1800014B
	buffer_store_dwordx4 v[8:11], v222, s[4:7], 0 offen        // 000000005454: E07C1000 800108DE
	v_add_i32 v222, v222, 64                                   // 00000000545C: D29C00DE 000181DE
	s_waitcnt vmcnt(0) expcnt(0) lgkmcnt(0)                    // 000000005464: BF8C0000
	v_accvgpr_read_b32 v8, a104                                // 000000005468: D3D84008 18000168
	v_accvgpr_read_b32 v9, a105                                // 000000005470: D3D84009 18000169
	v_accvgpr_read_b32 v10, a106                               // 000000005478: D3D8400A 1800016A
	v_accvgpr_read_b32 v11, a107                               // 000000005480: D3D8400B 1800016B
	buffer_store_dwordx4 v[8:11], v222, s[4:7], 0 offen        // 000000005488: E07C1000 800108DE
	v_add_i32 v222, v222, 64                                   // 000000005490: D29C00DE 000181DE
	s_waitcnt vmcnt(0) expcnt(0) lgkmcnt(0)                    // 000000005498: BF8C0000
	v_accvgpr_read_b32 v8, a12                                 // 00000000549C: D3D84008 1800010C
	v_accvgpr_read_b32 v9, a13                                 // 0000000054A4: D3D84009 1800010D
	v_accvgpr_read_b32 v10, a14                                // 0000000054AC: D3D8400A 1800010E
	v_accvgpr_read_b32 v11, a15                                // 0000000054B4: D3D8400B 1800010F
	buffer_store_dwordx4 v[8:11], v223, s[4:7], 0 offen        // 0000000054BC: E07C1000 800108DF
	v_add_i32 v223, v223, 64                                   // 0000000054C4: D29C00DF 000181DF
	s_waitcnt vmcnt(0) expcnt(0) lgkmcnt(0)                    // 0000000054CC: BF8C0000
	v_accvgpr_read_b32 v8, a44                                 // 0000000054D0: D3D84008 1800012C
	v_accvgpr_read_b32 v9, a45                                 // 0000000054D8: D3D84009 1800012D
	v_accvgpr_read_b32 v10, a46                                // 0000000054E0: D3D8400A 1800012E
	v_accvgpr_read_b32 v11, a47                                // 0000000054E8: D3D8400B 1800012F
	buffer_store_dwordx4 v[8:11], v223, s[4:7], 0 offen        // 0000000054F0: E07C1000 800108DF
	v_add_i32 v223, v223, 64                                   // 0000000054F8: D29C00DF 000181DF
	s_waitcnt vmcnt(0) expcnt(0) lgkmcnt(0)                    // 000000005500: BF8C0000
	v_accvgpr_read_b32 v8, a76                                 // 000000005504: D3D84008 1800014C
	v_accvgpr_read_b32 v9, a77                                 // 00000000550C: D3D84009 1800014D
	v_accvgpr_read_b32 v10, a78                                // 000000005514: D3D8400A 1800014E
	v_accvgpr_read_b32 v11, a79                                // 00000000551C: D3D8400B 1800014F
	buffer_store_dwordx4 v[8:11], v223, s[4:7], 0 offen        // 000000005524: E07C1000 800108DF
	v_add_i32 v223, v223, 64                                   // 00000000552C: D29C00DF 000181DF
	s_waitcnt vmcnt(0) expcnt(0) lgkmcnt(0)                    // 000000005534: BF8C0000
	v_accvgpr_read_b32 v8, a108                                // 000000005538: D3D84008 1800016C
	v_accvgpr_read_b32 v9, a109                                // 000000005540: D3D84009 1800016D
	v_accvgpr_read_b32 v10, a110                               // 000000005548: D3D8400A 1800016E
	v_accvgpr_read_b32 v11, a111                               // 000000005550: D3D8400B 1800016F
	buffer_store_dwordx4 v[8:11], v223, s[4:7], 0 offen        // 000000005558: E07C1000 800108DF
	v_add_i32 v223, v223, 64                                   // 000000005560: D29C00DF 000181DF
	s_waitcnt vmcnt(0) expcnt(0) lgkmcnt(0)                    // 000000005568: BF8C0000
	v_accvgpr_read_b32 v8, a16                                 // 00000000556C: D3D84008 18000110
	v_accvgpr_read_b32 v9, a17                                 // 000000005574: D3D84009 18000111
	v_accvgpr_read_b32 v10, a18                                // 00000000557C: D3D8400A 18000112
	v_accvgpr_read_b32 v11, a19                                // 000000005584: D3D8400B 18000113
	buffer_store_dwordx4 v[8:11], v224, s[4:7], 0 offen        // 00000000558C: E07C1000 800108E0
	v_add_i32 v224, v224, 64                                   // 000000005594: D29C00E0 000181E0
	s_waitcnt vmcnt(0) expcnt(0) lgkmcnt(0)                    // 00000000559C: BF8C0000
	v_accvgpr_read_b32 v8, a48                                 // 0000000055A0: D3D84008 18000130
	v_accvgpr_read_b32 v9, a49                                 // 0000000055A8: D3D84009 18000131
	v_accvgpr_read_b32 v10, a50                                // 0000000055B0: D3D8400A 18000132
	v_accvgpr_read_b32 v11, a51                                // 0000000055B8: D3D8400B 18000133
	buffer_store_dwordx4 v[8:11], v224, s[4:7], 0 offen        // 0000000055C0: E07C1000 800108E0
	v_add_i32 v224, v224, 64                                   // 0000000055C8: D29C00E0 000181E0
	s_waitcnt vmcnt(0) expcnt(0) lgkmcnt(0)                    // 0000000055D0: BF8C0000
	v_accvgpr_read_b32 v8, a80                                 // 0000000055D4: D3D84008 18000150
	v_accvgpr_read_b32 v9, a81                                 // 0000000055DC: D3D84009 18000151
	v_accvgpr_read_b32 v10, a82                                // 0000000055E4: D3D8400A 18000152
	v_accvgpr_read_b32 v11, a83                                // 0000000055EC: D3D8400B 18000153
	buffer_store_dwordx4 v[8:11], v224, s[4:7], 0 offen        // 0000000055F4: E07C1000 800108E0
	v_add_i32 v224, v224, 64                                   // 0000000055FC: D29C00E0 000181E0
	s_waitcnt vmcnt(0) expcnt(0) lgkmcnt(0)                    // 000000005604: BF8C0000
	v_accvgpr_read_b32 v8, a112                                // 000000005608: D3D84008 18000170
	v_accvgpr_read_b32 v9, a113                                // 000000005610: D3D84009 18000171
	v_accvgpr_read_b32 v10, a114                               // 000000005618: D3D8400A 18000172
	v_accvgpr_read_b32 v11, a115                               // 000000005620: D3D8400B 18000173
	buffer_store_dwordx4 v[8:11], v224, s[4:7], 0 offen        // 000000005628: E07C1000 800108E0
	v_add_i32 v224, v224, 64                                   // 000000005630: D29C00E0 000181E0
	s_waitcnt vmcnt(0) expcnt(0) lgkmcnt(0)                    // 000000005638: BF8C0000
	v_accvgpr_read_b32 v8, a20                                 // 00000000563C: D3D84008 18000114
	v_accvgpr_read_b32 v9, a21                                 // 000000005644: D3D84009 18000115
	v_accvgpr_read_b32 v10, a22                                // 00000000564C: D3D8400A 18000116
	v_accvgpr_read_b32 v11, a23                                // 000000005654: D3D8400B 18000117
	buffer_store_dwordx4 v[8:11], v225, s[4:7], 0 offen        // 00000000565C: E07C1000 800108E1
	v_add_i32 v225, v225, 64                                   // 000000005664: D29C00E1 000181E1
	s_waitcnt vmcnt(0) expcnt(0) lgkmcnt(0)                    // 00000000566C: BF8C0000
	v_accvgpr_read_b32 v8, a52                                 // 000000005670: D3D84008 18000134
	v_accvgpr_read_b32 v9, a53                                 // 000000005678: D3D84009 18000135
	v_accvgpr_read_b32 v10, a54                                // 000000005680: D3D8400A 18000136
	v_accvgpr_read_b32 v11, a55                                // 000000005688: D3D8400B 18000137
	buffer_store_dwordx4 v[8:11], v225, s[4:7], 0 offen        // 000000005690: E07C1000 800108E1
	v_add_i32 v225, v225, 64                                   // 000000005698: D29C00E1 000181E1
	s_waitcnt vmcnt(0) expcnt(0) lgkmcnt(0)                    // 0000000056A0: BF8C0000
	v_accvgpr_read_b32 v8, a84                                 // 0000000056A4: D3D84008 18000154
	v_accvgpr_read_b32 v9, a85                                 // 0000000056AC: D3D84009 18000155
	v_accvgpr_read_b32 v10, a86                                // 0000000056B4: D3D8400A 18000156
	v_accvgpr_read_b32 v11, a87                                // 0000000056BC: D3D8400B 18000157
	buffer_store_dwordx4 v[8:11], v225, s[4:7], 0 offen        // 0000000056C4: E07C1000 800108E1
	v_add_i32 v225, v225, 64                                   // 0000000056CC: D29C00E1 000181E1
	s_waitcnt vmcnt(0) expcnt(0) lgkmcnt(0)                    // 0000000056D4: BF8C0000
	v_accvgpr_read_b32 v8, a116                                // 0000000056D8: D3D84008 18000174
	v_accvgpr_read_b32 v9, a117                                // 0000000056E0: D3D84009 18000175
	v_accvgpr_read_b32 v10, a118                               // 0000000056E8: D3D8400A 18000176
	v_accvgpr_read_b32 v11, a119                               // 0000000056F0: D3D8400B 18000177
	buffer_store_dwordx4 v[8:11], v225, s[4:7], 0 offen        // 0000000056F8: E07C1000 800108E1
	v_add_i32 v225, v225, 64                                   // 000000005700: D29C00E1 000181E1
	s_waitcnt vmcnt(0) expcnt(0) lgkmcnt(0)                    // 000000005708: BF8C0000
	v_accvgpr_read_b32 v8, a24                                 // 00000000570C: D3D84008 18000118
	v_accvgpr_read_b32 v9, a25                                 // 000000005714: D3D84009 18000119
	v_accvgpr_read_b32 v10, a26                                // 00000000571C: D3D8400A 1800011A
	v_accvgpr_read_b32 v11, a27                                // 000000005724: D3D8400B 1800011B
	buffer_store_dwordx4 v[8:11], v226, s[4:7], 0 offen        // 00000000572C: E07C1000 800108E2
	v_add_i32 v226, v226, 64                                   // 000000005734: D29C00E2 000181E2
	s_waitcnt vmcnt(0) expcnt(0) lgkmcnt(0)                    // 00000000573C: BF8C0000
	v_accvgpr_read_b32 v8, a56                                 // 000000005740: D3D84008 18000138
	v_accvgpr_read_b32 v9, a57                                 // 000000005748: D3D84009 18000139
	v_accvgpr_read_b32 v10, a58                                // 000000005750: D3D8400A 1800013A
	v_accvgpr_read_b32 v11, a59                                // 000000005758: D3D8400B 1800013B
	buffer_store_dwordx4 v[8:11], v226, s[4:7], 0 offen        // 000000005760: E07C1000 800108E2
	v_add_i32 v226, v226, 64                                   // 000000005768: D29C00E2 000181E2
	s_waitcnt vmcnt(0) expcnt(0) lgkmcnt(0)                    // 000000005770: BF8C0000
	v_accvgpr_read_b32 v8, a88                                 // 000000005774: D3D84008 18000158
	v_accvgpr_read_b32 v9, a89                                 // 00000000577C: D3D84009 18000159
	v_accvgpr_read_b32 v10, a90                                // 000000005784: D3D8400A 1800015A
	v_accvgpr_read_b32 v11, a91                                // 00000000578C: D3D8400B 1800015B
	buffer_store_dwordx4 v[8:11], v226, s[4:7], 0 offen        // 000000005794: E07C1000 800108E2
	v_add_i32 v226, v226, 64                                   // 00000000579C: D29C00E2 000181E2
	s_waitcnt vmcnt(0) expcnt(0) lgkmcnt(0)                    // 0000000057A4: BF8C0000
	v_accvgpr_read_b32 v8, a120                                // 0000000057A8: D3D84008 18000178
	v_accvgpr_read_b32 v9, a121                                // 0000000057B0: D3D84009 18000179
	v_accvgpr_read_b32 v10, a122                               // 0000000057B8: D3D8400A 1800017A
	v_accvgpr_read_b32 v11, a123                               // 0000000057C0: D3D8400B 1800017B
	buffer_store_dwordx4 v[8:11], v226, s[4:7], 0 offen        // 0000000057C8: E07C1000 800108E2
	v_add_i32 v226, v226, 64                                   // 0000000057D0: D29C00E2 000181E2
	s_waitcnt vmcnt(0) expcnt(0) lgkmcnt(0)                    // 0000000057D8: BF8C0000
	v_accvgpr_read_b32 v8, a28                                 // 0000000057DC: D3D84008 1800011C
	v_accvgpr_read_b32 v9, a29                                 // 0000000057E4: D3D84009 1800011D
	v_accvgpr_read_b32 v10, a30                                // 0000000057EC: D3D8400A 1800011E
	v_accvgpr_read_b32 v11, a31                                // 0000000057F4: D3D8400B 1800011F
	buffer_store_dwordx4 v[8:11], v227, s[4:7], 0 offen        // 0000000057FC: E07C1000 800108E3
	v_add_i32 v227, v227, 64                                   // 000000005804: D29C00E3 000181E3
	s_waitcnt vmcnt(0) expcnt(0) lgkmcnt(0)                    // 00000000580C: BF8C0000
	v_accvgpr_read_b32 v8, a60                                 // 000000005810: D3D84008 1800013C
	v_accvgpr_read_b32 v9, a61                                 // 000000005818: D3D84009 1800013D
	v_accvgpr_read_b32 v10, a62                                // 000000005820: D3D8400A 1800013E
	v_accvgpr_read_b32 v11, a63                                // 000000005828: D3D8400B 1800013F
	buffer_store_dwordx4 v[8:11], v227, s[4:7], 0 offen        // 000000005830: E07C1000 800108E3
	v_add_i32 v227, v227, 64                                   // 000000005838: D29C00E3 000181E3
	s_waitcnt vmcnt(0) expcnt(0) lgkmcnt(0)                    // 000000005840: BF8C0000
	v_accvgpr_read_b32 v8, a92                                 // 000000005844: D3D84008 1800015C
	v_accvgpr_read_b32 v9, a93                                 // 00000000584C: D3D84009 1800015D
	v_accvgpr_read_b32 v10, a94                                // 000000005854: D3D8400A 1800015E
	v_accvgpr_read_b32 v11, a95                                // 00000000585C: D3D8400B 1800015F
	buffer_store_dwordx4 v[8:11], v227, s[4:7], 0 offen        // 000000005864: E07C1000 800108E3
	v_add_i32 v227, v227, 64                                   // 00000000586C: D29C00E3 000181E3
	s_waitcnt vmcnt(0) expcnt(0) lgkmcnt(0)                    // 000000005874: BF8C0000
	v_accvgpr_read_b32 v8, a124                                // 000000005878: D3D84008 1800017C
	v_accvgpr_read_b32 v9, a125                                // 000000005880: D3D84009 1800017D
	v_accvgpr_read_b32 v10, a126                               // 000000005888: D3D8400A 1800017E
	v_accvgpr_read_b32 v11, a127                               // 000000005890: D3D8400B 1800017F
	buffer_store_dwordx4 v[8:11], v227, s[4:7], 0 offen        // 000000005898: E07C1000 800108E3
	v_add_i32 v227, v227, 64                                   // 0000000058A0: D29C00E3 000181E3
	s_waitcnt vmcnt(0) expcnt(0) lgkmcnt(0)                    // 0000000058A8: BF8C0000
	v_accvgpr_read_b32 v8, a128                                // 0000000058AC: D3D84008 18000180
	v_accvgpr_read_b32 v9, a129                                // 0000000058B4: D3D84009 18000181
	v_accvgpr_read_b32 v10, a130                               // 0000000058BC: D3D8400A 18000182
	v_accvgpr_read_b32 v11, a131                               // 0000000058C4: D3D8400B 18000183
	buffer_store_dwordx4 v[8:11], v228, s[4:7], 0 offen        // 0000000058CC: E07C1000 800108E4
	v_add_i32 v228, v228, 64                                   // 0000000058D4: D29C00E4 000181E4
	s_waitcnt vmcnt(0) expcnt(0) lgkmcnt(0)                    // 0000000058DC: BF8C0000
	v_accvgpr_read_b32 v8, a160                                // 0000000058E0: D3D84008 180001A0
	v_accvgpr_read_b32 v9, a161                                // 0000000058E8: D3D84009 180001A1
	v_accvgpr_read_b32 v10, a162                               // 0000000058F0: D3D8400A 180001A2
	v_accvgpr_read_b32 v11, a163                               // 0000000058F8: D3D8400B 180001A3
	buffer_store_dwordx4 v[8:11], v228, s[4:7], 0 offen        // 000000005900: E07C1000 800108E4
	v_add_i32 v228, v228, 64                                   // 000000005908: D29C00E4 000181E4
	s_waitcnt vmcnt(0) expcnt(0) lgkmcnt(0)                    // 000000005910: BF8C0000
	v_accvgpr_read_b32 v8, a192                                // 000000005914: D3D84008 180001C0
	v_accvgpr_read_b32 v9, a193                                // 00000000591C: D3D84009 180001C1
	v_accvgpr_read_b32 v10, a194                               // 000000005924: D3D8400A 180001C2
	v_accvgpr_read_b32 v11, a195                               // 00000000592C: D3D8400B 180001C3
	buffer_store_dwordx4 v[8:11], v228, s[4:7], 0 offen        // 000000005934: E07C1000 800108E4
	v_add_i32 v228, v228, 64                                   // 00000000593C: D29C00E4 000181E4
	s_waitcnt vmcnt(0) expcnt(0) lgkmcnt(0)                    // 000000005944: BF8C0000
	v_accvgpr_read_b32 v8, a224                                // 000000005948: D3D84008 180001E0
	v_accvgpr_read_b32 v9, a225                                // 000000005950: D3D84009 180001E1
	v_accvgpr_read_b32 v10, a226                               // 000000005958: D3D8400A 180001E2
	v_accvgpr_read_b32 v11, a227                               // 000000005960: D3D8400B 180001E3
	buffer_store_dwordx4 v[8:11], v228, s[4:7], 0 offen        // 000000005968: E07C1000 800108E4
	v_add_i32 v228, v228, 64                                   // 000000005970: D29C00E4 000181E4
	s_waitcnt vmcnt(0) expcnt(0) lgkmcnt(0)                    // 000000005978: BF8C0000
	v_accvgpr_read_b32 v8, a132                                // 00000000597C: D3D84008 18000184
	v_accvgpr_read_b32 v9, a133                                // 000000005984: D3D84009 18000185
	v_accvgpr_read_b32 v10, a134                               // 00000000598C: D3D8400A 18000186
	v_accvgpr_read_b32 v11, a135                               // 000000005994: D3D8400B 18000187
	buffer_store_dwordx4 v[8:11], v229, s[4:7], 0 offen        // 00000000599C: E07C1000 800108E5
	v_add_i32 v229, v229, 64                                   // 0000000059A4: D29C00E5 000181E5
	s_waitcnt vmcnt(0) expcnt(0) lgkmcnt(0)                    // 0000000059AC: BF8C0000
	v_accvgpr_read_b32 v8, a164                                // 0000000059B0: D3D84008 180001A4
	v_accvgpr_read_b32 v9, a165                                // 0000000059B8: D3D84009 180001A5
	v_accvgpr_read_b32 v10, a166                               // 0000000059C0: D3D8400A 180001A6
	v_accvgpr_read_b32 v11, a167                               // 0000000059C8: D3D8400B 180001A7
	buffer_store_dwordx4 v[8:11], v229, s[4:7], 0 offen        // 0000000059D0: E07C1000 800108E5
	v_add_i32 v229, v229, 64                                   // 0000000059D8: D29C00E5 000181E5
	s_waitcnt vmcnt(0) expcnt(0) lgkmcnt(0)                    // 0000000059E0: BF8C0000
	v_accvgpr_read_b32 v8, a196                                // 0000000059E4: D3D84008 180001C4
	v_accvgpr_read_b32 v9, a197                                // 0000000059EC: D3D84009 180001C5
	v_accvgpr_read_b32 v10, a198                               // 0000000059F4: D3D8400A 180001C6
	v_accvgpr_read_b32 v11, a199                               // 0000000059FC: D3D8400B 180001C7
	buffer_store_dwordx4 v[8:11], v229, s[4:7], 0 offen        // 000000005A04: E07C1000 800108E5
	v_add_i32 v229, v229, 64                                   // 000000005A0C: D29C00E5 000181E5
	s_waitcnt vmcnt(0) expcnt(0) lgkmcnt(0)                    // 000000005A14: BF8C0000
	v_accvgpr_read_b32 v8, a228                                // 000000005A18: D3D84008 180001E4
	v_accvgpr_read_b32 v9, a229                                // 000000005A20: D3D84009 180001E5
	v_accvgpr_read_b32 v10, a230                               // 000000005A28: D3D8400A 180001E6
	v_accvgpr_read_b32 v11, a231                               // 000000005A30: D3D8400B 180001E7
	buffer_store_dwordx4 v[8:11], v229, s[4:7], 0 offen        // 000000005A38: E07C1000 800108E5
	v_add_i32 v229, v229, 64                                   // 000000005A40: D29C00E5 000181E5
	s_waitcnt vmcnt(0) expcnt(0) lgkmcnt(0)                    // 000000005A48: BF8C0000
	v_accvgpr_read_b32 v8, a136                                // 000000005A4C: D3D84008 18000188
	v_accvgpr_read_b32 v9, a137                                // 000000005A54: D3D84009 18000189
	v_accvgpr_read_b32 v10, a138                               // 000000005A5C: D3D8400A 1800018A
	v_accvgpr_read_b32 v11, a139                               // 000000005A64: D3D8400B 1800018B
	buffer_store_dwordx4 v[8:11], v230, s[4:7], 0 offen        // 000000005A6C: E07C1000 800108E6
	v_add_i32 v230, v230, 64                                   // 000000005A74: D29C00E6 000181E6
	s_waitcnt vmcnt(0) expcnt(0) lgkmcnt(0)                    // 000000005A7C: BF8C0000
	v_accvgpr_read_b32 v8, a168                                // 000000005A80: D3D84008 180001A8
	v_accvgpr_read_b32 v9, a169                                // 000000005A88: D3D84009 180001A9
	v_accvgpr_read_b32 v10, a170                               // 000000005A90: D3D8400A 180001AA
	v_accvgpr_read_b32 v11, a171                               // 000000005A98: D3D8400B 180001AB
	buffer_store_dwordx4 v[8:11], v230, s[4:7], 0 offen        // 000000005AA0: E07C1000 800108E6
	v_add_i32 v230, v230, 64                                   // 000000005AA8: D29C00E6 000181E6
	s_waitcnt vmcnt(0) expcnt(0) lgkmcnt(0)                    // 000000005AB0: BF8C0000
	v_accvgpr_read_b32 v8, a200                                // 000000005AB4: D3D84008 180001C8
	v_accvgpr_read_b32 v9, a201                                // 000000005ABC: D3D84009 180001C9
	v_accvgpr_read_b32 v10, a202                               // 000000005AC4: D3D8400A 180001CA
	v_accvgpr_read_b32 v11, a203                               // 000000005ACC: D3D8400B 180001CB
	buffer_store_dwordx4 v[8:11], v230, s[4:7], 0 offen        // 000000005AD4: E07C1000 800108E6
	v_add_i32 v230, v230, 64                                   // 000000005ADC: D29C00E6 000181E6
	s_waitcnt vmcnt(0) expcnt(0) lgkmcnt(0)                    // 000000005AE4: BF8C0000
	v_accvgpr_read_b32 v8, a232                                // 000000005AE8: D3D84008 180001E8
	v_accvgpr_read_b32 v9, a233                                // 000000005AF0: D3D84009 180001E9
	v_accvgpr_read_b32 v10, a234                               // 000000005AF8: D3D8400A 180001EA
	v_accvgpr_read_b32 v11, a235                               // 000000005B00: D3D8400B 180001EB
	buffer_store_dwordx4 v[8:11], v230, s[4:7], 0 offen        // 000000005B08: E07C1000 800108E6
	v_add_i32 v230, v230, 64                                   // 000000005B10: D29C00E6 000181E6
	s_waitcnt vmcnt(0) expcnt(0) lgkmcnt(0)                    // 000000005B18: BF8C0000
	v_accvgpr_read_b32 v8, a140                                // 000000005B1C: D3D84008 1800018C
	v_accvgpr_read_b32 v9, a141                                // 000000005B24: D3D84009 1800018D
	v_accvgpr_read_b32 v10, a142                               // 000000005B2C: D3D8400A 1800018E
	v_accvgpr_read_b32 v11, a143                               // 000000005B34: D3D8400B 1800018F
	buffer_store_dwordx4 v[8:11], v231, s[4:7], 0 offen        // 000000005B3C: E07C1000 800108E7
	v_add_i32 v231, v231, 64                                   // 000000005B44: D29C00E7 000181E7
	s_waitcnt vmcnt(0) expcnt(0) lgkmcnt(0)                    // 000000005B4C: BF8C0000
	v_accvgpr_read_b32 v8, a172                                // 000000005B50: D3D84008 180001AC
	v_accvgpr_read_b32 v9, a173                                // 000000005B58: D3D84009 180001AD
	v_accvgpr_read_b32 v10, a174                               // 000000005B60: D3D8400A 180001AE
	v_accvgpr_read_b32 v11, a175                               // 000000005B68: D3D8400B 180001AF
	buffer_store_dwordx4 v[8:11], v231, s[4:7], 0 offen        // 000000005B70: E07C1000 800108E7
	v_add_i32 v231, v231, 64                                   // 000000005B78: D29C00E7 000181E7
	s_waitcnt vmcnt(0) expcnt(0) lgkmcnt(0)                    // 000000005B80: BF8C0000
	v_accvgpr_read_b32 v8, a204                                // 000000005B84: D3D84008 180001CC
	v_accvgpr_read_b32 v9, a205                                // 000000005B8C: D3D84009 180001CD
	v_accvgpr_read_b32 v10, a206                               // 000000005B94: D3D8400A 180001CE
	v_accvgpr_read_b32 v11, a207                               // 000000005B9C: D3D8400B 180001CF
	buffer_store_dwordx4 v[8:11], v231, s[4:7], 0 offen        // 000000005BA4: E07C1000 800108E7
	v_add_i32 v231, v231, 64                                   // 000000005BAC: D29C00E7 000181E7
	s_waitcnt vmcnt(0) expcnt(0) lgkmcnt(0)                    // 000000005BB4: BF8C0000
	v_accvgpr_read_b32 v8, a236                                // 000000005BB8: D3D84008 180001EC
	v_accvgpr_read_b32 v9, a237                                // 000000005BC0: D3D84009 180001ED
	v_accvgpr_read_b32 v10, a238                               // 000000005BC8: D3D8400A 180001EE
	v_accvgpr_read_b32 v11, a239                               // 000000005BD0: D3D8400B 180001EF
	buffer_store_dwordx4 v[8:11], v231, s[4:7], 0 offen        // 000000005BD8: E07C1000 800108E7
	v_add_i32 v231, v231, 64                                   // 000000005BE0: D29C00E7 000181E7
	s_waitcnt vmcnt(0) expcnt(0) lgkmcnt(0)                    // 000000005BE8: BF8C0000
	v_accvgpr_read_b32 v8, a144                                // 000000005BEC: D3D84008 18000190
	v_accvgpr_read_b32 v9, a145                                // 000000005BF4: D3D84009 18000191
	v_accvgpr_read_b32 v10, a146                               // 000000005BFC: D3D8400A 18000192
	v_accvgpr_read_b32 v11, a147                               // 000000005C04: D3D8400B 18000193
	buffer_store_dwordx4 v[8:11], v232, s[4:7], 0 offen        // 000000005C0C: E07C1000 800108E8
	v_add_i32 v232, v232, 64                                   // 000000005C14: D29C00E8 000181E8
	s_waitcnt vmcnt(0) expcnt(0) lgkmcnt(0)                    // 000000005C1C: BF8C0000
	v_accvgpr_read_b32 v8, a176                                // 000000005C20: D3D84008 180001B0
	v_accvgpr_read_b32 v9, a177                                // 000000005C28: D3D84009 180001B1
	v_accvgpr_read_b32 v10, a178                               // 000000005C30: D3D8400A 180001B2
	v_accvgpr_read_b32 v11, a179                               // 000000005C38: D3D8400B 180001B3
	buffer_store_dwordx4 v[8:11], v232, s[4:7], 0 offen        // 000000005C40: E07C1000 800108E8
	v_add_i32 v232, v232, 64                                   // 000000005C48: D29C00E8 000181E8
	s_waitcnt vmcnt(0) expcnt(0) lgkmcnt(0)                    // 000000005C50: BF8C0000
	v_accvgpr_read_b32 v8, a208                                // 000000005C54: D3D84008 180001D0
	v_accvgpr_read_b32 v9, a209                                // 000000005C5C: D3D84009 180001D1
	v_accvgpr_read_b32 v10, a210                               // 000000005C64: D3D8400A 180001D2
	v_accvgpr_read_b32 v11, a211                               // 000000005C6C: D3D8400B 180001D3
	buffer_store_dwordx4 v[8:11], v232, s[4:7], 0 offen        // 000000005C74: E07C1000 800108E8
	v_add_i32 v232, v232, 64                                   // 000000005C7C: D29C00E8 000181E8
	s_waitcnt vmcnt(0) expcnt(0) lgkmcnt(0)                    // 000000005C84: BF8C0000
	v_accvgpr_read_b32 v8, a240                                // 000000005C88: D3D84008 180001F0
	v_accvgpr_read_b32 v9, a241                                // 000000005C90: D3D84009 180001F1
	v_accvgpr_read_b32 v10, a242                               // 000000005C98: D3D8400A 180001F2
	v_accvgpr_read_b32 v11, a243                               // 000000005CA0: D3D8400B 180001F3
	buffer_store_dwordx4 v[8:11], v232, s[4:7], 0 offen        // 000000005CA8: E07C1000 800108E8
	v_add_i32 v232, v232, 64                                   // 000000005CB0: D29C00E8 000181E8
	s_waitcnt vmcnt(0) expcnt(0) lgkmcnt(0)                    // 000000005CB8: BF8C0000
	v_accvgpr_read_b32 v8, a148                                // 000000005CBC: D3D84008 18000194
	v_accvgpr_read_b32 v9, a149                                // 000000005CC4: D3D84009 18000195
	v_accvgpr_read_b32 v10, a150                               // 000000005CCC: D3D8400A 18000196
	v_accvgpr_read_b32 v11, a151                               // 000000005CD4: D3D8400B 18000197
	buffer_store_dwordx4 v[8:11], v233, s[4:7], 0 offen        // 000000005CDC: E07C1000 800108E9
	v_add_i32 v233, v233, 64                                   // 000000005CE4: D29C00E9 000181E9
	s_waitcnt vmcnt(0) expcnt(0) lgkmcnt(0)                    // 000000005CEC: BF8C0000
	v_accvgpr_read_b32 v8, a180                                // 000000005CF0: D3D84008 180001B4
	v_accvgpr_read_b32 v9, a181                                // 000000005CF8: D3D84009 180001B5
	v_accvgpr_read_b32 v10, a182                               // 000000005D00: D3D8400A 180001B6
	v_accvgpr_read_b32 v11, a183                               // 000000005D08: D3D8400B 180001B7
	buffer_store_dwordx4 v[8:11], v233, s[4:7], 0 offen        // 000000005D10: E07C1000 800108E9
	v_add_i32 v233, v233, 64                                   // 000000005D18: D29C00E9 000181E9
	s_waitcnt vmcnt(0) expcnt(0) lgkmcnt(0)                    // 000000005D20: BF8C0000
	v_accvgpr_read_b32 v8, a212                                // 000000005D24: D3D84008 180001D4
	v_accvgpr_read_b32 v9, a213                                // 000000005D2C: D3D84009 180001D5
	v_accvgpr_read_b32 v10, a214                               // 000000005D34: D3D8400A 180001D6
	v_accvgpr_read_b32 v11, a215                               // 000000005D3C: D3D8400B 180001D7
	buffer_store_dwordx4 v[8:11], v233, s[4:7], 0 offen        // 000000005D44: E07C1000 800108E9
	v_add_i32 v233, v233, 64                                   // 000000005D4C: D29C00E9 000181E9
	s_waitcnt vmcnt(0) expcnt(0) lgkmcnt(0)                    // 000000005D54: BF8C0000
	v_accvgpr_read_b32 v8, a244                                // 000000005D58: D3D84008 180001F4
	v_accvgpr_read_b32 v9, a245                                // 000000005D60: D3D84009 180001F5
	v_accvgpr_read_b32 v10, a246                               // 000000005D68: D3D8400A 180001F6
	v_accvgpr_read_b32 v11, a247                               // 000000005D70: D3D8400B 180001F7
	buffer_store_dwordx4 v[8:11], v233, s[4:7], 0 offen        // 000000005D78: E07C1000 800108E9
	v_add_i32 v233, v233, 64                                   // 000000005D80: D29C00E9 000181E9
	s_waitcnt vmcnt(0) expcnt(0) lgkmcnt(0)                    // 000000005D88: BF8C0000
	v_accvgpr_read_b32 v8, a152                                // 000000005D8C: D3D84008 18000198
	v_accvgpr_read_b32 v9, a153                                // 000000005D94: D3D84009 18000199
	v_accvgpr_read_b32 v10, a154                               // 000000005D9C: D3D8400A 1800019A
	v_accvgpr_read_b32 v11, a155                               // 000000005DA4: D3D8400B 1800019B
	buffer_store_dwordx4 v[8:11], v234, s[4:7], 0 offen        // 000000005DAC: E07C1000 800108EA
	v_add_i32 v234, v234, 64                                   // 000000005DB4: D29C00EA 000181EA
	s_waitcnt vmcnt(0) expcnt(0) lgkmcnt(0)                    // 000000005DBC: BF8C0000
	v_accvgpr_read_b32 v8, a184                                // 000000005DC0: D3D84008 180001B8
	v_accvgpr_read_b32 v9, a185                                // 000000005DC8: D3D84009 180001B9
	v_accvgpr_read_b32 v10, a186                               // 000000005DD0: D3D8400A 180001BA
	v_accvgpr_read_b32 v11, a187                               // 000000005DD8: D3D8400B 180001BB
	buffer_store_dwordx4 v[8:11], v234, s[4:7], 0 offen        // 000000005DE0: E07C1000 800108EA
	v_add_i32 v234, v234, 64                                   // 000000005DE8: D29C00EA 000181EA
	s_waitcnt vmcnt(0) expcnt(0) lgkmcnt(0)                    // 000000005DF0: BF8C0000
	v_accvgpr_read_b32 v8, a216                                // 000000005DF4: D3D84008 180001D8
	v_accvgpr_read_b32 v9, a217                                // 000000005DFC: D3D84009 180001D9
	v_accvgpr_read_b32 v10, a218                               // 000000005E04: D3D8400A 180001DA
	v_accvgpr_read_b32 v11, a219                               // 000000005E0C: D3D8400B 180001DB
	buffer_store_dwordx4 v[8:11], v234, s[4:7], 0 offen        // 000000005E14: E07C1000 800108EA
	v_add_i32 v234, v234, 64                                   // 000000005E1C: D29C00EA 000181EA
	s_waitcnt vmcnt(0) expcnt(0) lgkmcnt(0)                    // 000000005E24: BF8C0000
	v_accvgpr_read_b32 v8, a248                                // 000000005E28: D3D84008 180001F8
	v_accvgpr_read_b32 v9, a249                                // 000000005E30: D3D84009 180001F9
	v_accvgpr_read_b32 v10, a250                               // 000000005E38: D3D8400A 180001FA
	v_accvgpr_read_b32 v11, a251                               // 000000005E40: D3D8400B 180001FB
	buffer_store_dwordx4 v[8:11], v234, s[4:7], 0 offen        // 000000005E48: E07C1000 800108EA
	v_add_i32 v234, v234, 64                                   // 000000005E50: D29C00EA 000181EA
	s_waitcnt vmcnt(0) expcnt(0) lgkmcnt(0)                    // 000000005E58: BF8C0000
	v_accvgpr_read_b32 v8, a156                                // 000000005E5C: D3D84008 1800019C
	v_accvgpr_read_b32 v9, a157                                // 000000005E64: D3D84009 1800019D
	v_accvgpr_read_b32 v10, a158                               // 000000005E6C: D3D8400A 1800019E
	v_accvgpr_read_b32 v11, a159                               // 000000005E74: D3D8400B 1800019F
	buffer_store_dwordx4 v[8:11], v235, s[4:7], 0 offen        // 000000005E7C: E07C1000 800108EB
	v_add_i32 v235, v235, 64                                   // 000000005E84: D29C00EB 000181EB
	s_waitcnt vmcnt(0) expcnt(0) lgkmcnt(0)                    // 000000005E8C: BF8C0000
	v_accvgpr_read_b32 v8, a188                                // 000000005E90: D3D84008 180001BC
	v_accvgpr_read_b32 v9, a189                                // 000000005E98: D3D84009 180001BD
	v_accvgpr_read_b32 v10, a190                               // 000000005EA0: D3D8400A 180001BE
	v_accvgpr_read_b32 v11, a191                               // 000000005EA8: D3D8400B 180001BF
	buffer_store_dwordx4 v[8:11], v235, s[4:7], 0 offen        // 000000005EB0: E07C1000 800108EB
	v_add_i32 v235, v235, 64                                   // 000000005EB8: D29C00EB 000181EB
	s_waitcnt vmcnt(0) expcnt(0) lgkmcnt(0)                    // 000000005EC0: BF8C0000
	v_accvgpr_read_b32 v8, a220                                // 000000005EC4: D3D84008 180001DC
	v_accvgpr_read_b32 v9, a221                                // 000000005ECC: D3D84009 180001DD
	v_accvgpr_read_b32 v10, a222                               // 000000005ED4: D3D8400A 180001DE
	v_accvgpr_read_b32 v11, a223                               // 000000005EDC: D3D8400B 180001DF
	buffer_store_dwordx4 v[8:11], v235, s[4:7], 0 offen        // 000000005EE4: E07C1000 800108EB
	v_add_i32 v235, v235, 64                                   // 000000005EEC: D29C00EB 000181EB
	s_waitcnt vmcnt(0) expcnt(0) lgkmcnt(0)                    // 000000005EF4: BF8C0000
	v_accvgpr_read_b32 v8, a252                                // 000000005EF8: D3D84008 180001FC
	v_accvgpr_read_b32 v9, a253                                // 000000005F00: D3D84009 180001FD
	v_accvgpr_read_b32 v10, a254                               // 000000005F08: D3D8400A 180001FE
	v_accvgpr_read_b32 v11, a255                               // 000000005F10: D3D8400B 180001FF
	buffer_store_dwordx4 v[8:11], v235, s[4:7], 0 offen        // 000000005F18: E07C1000 800108EB
	v_add_i32 v235, v235, 64                                   // 000000005F20: D29C00EB 000181EB
	s_waitcnt vmcnt(0) expcnt(0) lgkmcnt(0)                    // 000000005F28: BF8C0000
	s_branch label_11A2                                        // 000000005F2C: BF820450

0000000000005f30 <label_0D52>:
	v_accvgpr_read_b32 v8, a0                                  // 000000005F30: D3D84008 18000100
	v_accvgpr_read_b32 v9, a1                                  // 000000005F38: D3D84009 18000101
	v_accvgpr_read_b32 v10, a2                                 // 000000005F40: D3D8400A 18000102
	v_accvgpr_read_b32 v11, a3                                 // 000000005F48: D3D8400B 18000103
	v_accvgpr_read_b32 v12, a32                                // 000000005F50: D3D8400C 18000120
	v_accvgpr_read_b32 v13, a33                                // 000000005F58: D3D8400D 18000121
	v_accvgpr_read_b32 v14, a34                                // 000000005F60: D3D8400E 18000122
	v_accvgpr_read_b32 v15, a35                                // 000000005F68: D3D8400F 18000123
	v_cvt_pk_bf16_f32 v16, v8, v9                              // 000000005F70: D2680010 00021308
	v_cvt_pk_bf16_f32 v17, v10, v11                            // 000000005F78: D2680011 0002170A
	v_cvt_pk_bf16_f32 v18, v12, v13                            // 000000005F80: D2680012 00021B0C
	v_cvt_pk_bf16_f32 v19, v14, v15                            // 000000005F88: D2680013 00021F0E
	s_nop 1                                                    // 000000005F90: BF800001
	v_permlane16_swap_b32_e32 v16, v18                         // 000000005F94: 7E20B312
	s_nop 1                                                    // 000000005F98: BF800001
	v_permlane16_swap_b32_e32 v17, v19                         // 000000005F9C: 7E22B313
	s_nop 1                                                    // 000000005FA0: BF800001
	buffer_store_dwordx4 v[16:19], v220, s[4:7], 0 offen       // 000000005FA4: E07C1000 800110DC
	v_add_i32 v220, v220, 64                                   // 000000005FAC: D29C00DC 000181DC
	v_accvgpr_read_b32 v8, a64                                 // 000000005FB4: D3D84008 18000140
	v_accvgpr_read_b32 v9, a65                                 // 000000005FBC: D3D84009 18000141
	v_accvgpr_read_b32 v10, a66                                // 000000005FC4: D3D8400A 18000142
	v_accvgpr_read_b32 v11, a67                                // 000000005FCC: D3D8400B 18000143
	v_accvgpr_read_b32 v12, a96                                // 000000005FD4: D3D8400C 18000160
	v_accvgpr_read_b32 v13, a97                                // 000000005FDC: D3D8400D 18000161
	v_accvgpr_read_b32 v14, a98                                // 000000005FE4: D3D8400E 18000162
	v_accvgpr_read_b32 v15, a99                                // 000000005FEC: D3D8400F 18000163
	v_cvt_pk_bf16_f32 v16, v8, v9                              // 000000005FF4: D2680010 00021308
	v_cvt_pk_bf16_f32 v17, v10, v11                            // 000000005FFC: D2680011 0002170A
	v_cvt_pk_bf16_f32 v18, v12, v13                            // 000000006004: D2680012 00021B0C
	v_cvt_pk_bf16_f32 v19, v14, v15                            // 00000000600C: D2680013 00021F0E
	s_nop 1                                                    // 000000006014: BF800001
	v_permlane16_swap_b32_e32 v16, v18                         // 000000006018: 7E20B312
	s_nop 1                                                    // 00000000601C: BF800001
	v_permlane16_swap_b32_e32 v17, v19                         // 000000006020: 7E22B313
	s_nop 1                                                    // 000000006024: BF800001
	buffer_store_dwordx4 v[16:19], v220, s[4:7], 0 offen       // 000000006028: E07C1000 800110DC
	v_add_i32 v220, v220, 64                                   // 000000006030: D29C00DC 000181DC
	s_addk_i32 s49, 0x1                                        // 000000006038: B7310001
	s_cmp_lt_i32 s49, s50                                      // 00000000603C: BF043231
	s_cbranch_scc0 label_11A2                                  // 000000006040: BF84040B
	v_accvgpr_read_b32 v8, a4                                  // 000000006044: D3D84008 18000104
	v_accvgpr_read_b32 v9, a5                                  // 00000000604C: D3D84009 18000105
	v_accvgpr_read_b32 v10, a6                                 // 000000006054: D3D8400A 18000106
	v_accvgpr_read_b32 v11, a7                                 // 00000000605C: D3D8400B 18000107
	v_accvgpr_read_b32 v12, a36                                // 000000006064: D3D8400C 18000124
	v_accvgpr_read_b32 v13, a37                                // 00000000606C: D3D8400D 18000125
	v_accvgpr_read_b32 v14, a38                                // 000000006074: D3D8400E 18000126
	v_accvgpr_read_b32 v15, a39                                // 00000000607C: D3D8400F 18000127
	v_cvt_pk_bf16_f32 v16, v8, v9                              // 000000006084: D2680010 00021308
	v_cvt_pk_bf16_f32 v17, v10, v11                            // 00000000608C: D2680011 0002170A
	v_cvt_pk_bf16_f32 v18, v12, v13                            // 000000006094: D2680012 00021B0C
	v_cvt_pk_bf16_f32 v19, v14, v15                            // 00000000609C: D2680013 00021F0E
	s_nop 1                                                    // 0000000060A4: BF800001
	v_permlane16_swap_b32_e32 v16, v18                         // 0000000060A8: 7E20B312
	s_nop 1                                                    // 0000000060AC: BF800001
	v_permlane16_swap_b32_e32 v17, v19                         // 0000000060B0: 7E22B313
	s_nop 1                                                    // 0000000060B4: BF800001
	buffer_store_dwordx4 v[16:19], v221, s[4:7], 0 offen       // 0000000060B8: E07C1000 800110DD
	v_add_i32 v221, v221, 64                                   // 0000000060C0: D29C00DD 000181DD
	v_accvgpr_read_b32 v8, a68                                 // 0000000060C8: D3D84008 18000144
	v_accvgpr_read_b32 v9, a69                                 // 0000000060D0: D3D84009 18000145
	v_accvgpr_read_b32 v10, a70                                // 0000000060D8: D3D8400A 18000146
	v_accvgpr_read_b32 v11, a71                                // 0000000060E0: D3D8400B 18000147
	v_accvgpr_read_b32 v12, a100                               // 0000000060E8: D3D8400C 18000164
	v_accvgpr_read_b32 v13, a101                               // 0000000060F0: D3D8400D 18000165
	v_accvgpr_read_b32 v14, a102                               // 0000000060F8: D3D8400E 18000166
	v_accvgpr_read_b32 v15, a103                               // 000000006100: D3D8400F 18000167
	v_cvt_pk_bf16_f32 v16, v8, v9                              // 000000006108: D2680010 00021308
	v_cvt_pk_bf16_f32 v17, v10, v11                            // 000000006110: D2680011 0002170A
	v_cvt_pk_bf16_f32 v18, v12, v13                            // 000000006118: D2680012 00021B0C
	v_cvt_pk_bf16_f32 v19, v14, v15                            // 000000006120: D2680013 00021F0E
	s_nop 1                                                    // 000000006128: BF800001
	v_permlane16_swap_b32_e32 v16, v18                         // 00000000612C: 7E20B312
	s_nop 1                                                    // 000000006130: BF800001
	v_permlane16_swap_b32_e32 v17, v19                         // 000000006134: 7E22B313
	s_nop 1                                                    // 000000006138: BF800001
	buffer_store_dwordx4 v[16:19], v221, s[4:7], 0 offen       // 00000000613C: E07C1000 800110DD
	v_add_i32 v221, v221, 64                                   // 000000006144: D29C00DD 000181DD
	s_addk_i32 s49, 0x1                                        // 00000000614C: B7310001
	s_cmp_lt_i32 s49, s50                                      // 000000006150: BF043231
	s_cbranch_scc0 label_11A2                                  // 000000006154: BF8403C6
	v_accvgpr_read_b32 v8, a8                                  // 000000006158: D3D84008 18000108
	v_accvgpr_read_b32 v9, a9                                  // 000000006160: D3D84009 18000109
	v_accvgpr_read_b32 v10, a10                                // 000000006168: D3D8400A 1800010A
	v_accvgpr_read_b32 v11, a11                                // 000000006170: D3D8400B 1800010B
	v_accvgpr_read_b32 v12, a40                                // 000000006178: D3D8400C 18000128
	v_accvgpr_read_b32 v13, a41                                // 000000006180: D3D8400D 18000129
	v_accvgpr_read_b32 v14, a42                                // 000000006188: D3D8400E 1800012A
	v_accvgpr_read_b32 v15, a43                                // 000000006190: D3D8400F 1800012B
	v_cvt_pk_bf16_f32 v16, v8, v9                              // 000000006198: D2680010 00021308
	v_cvt_pk_bf16_f32 v17, v10, v11                            // 0000000061A0: D2680011 0002170A
	v_cvt_pk_bf16_f32 v18, v12, v13                            // 0000000061A8: D2680012 00021B0C
	v_cvt_pk_bf16_f32 v19, v14, v15                            // 0000000061B0: D2680013 00021F0E
	s_nop 1                                                    // 0000000061B8: BF800001
	v_permlane16_swap_b32_e32 v16, v18                         // 0000000061BC: 7E20B312
	s_nop 1                                                    // 0000000061C0: BF800001
	v_permlane16_swap_b32_e32 v17, v19                         // 0000000061C4: 7E22B313
	s_nop 1                                                    // 0000000061C8: BF800001
	buffer_store_dwordx4 v[16:19], v222, s[4:7], 0 offen       // 0000000061CC: E07C1000 800110DE
	v_add_i32 v222, v222, 64                                   // 0000000061D4: D29C00DE 000181DE
	v_accvgpr_read_b32 v8, a72                                 // 0000000061DC: D3D84008 18000148
	v_accvgpr_read_b32 v9, a73                                 // 0000000061E4: D3D84009 18000149
	v_accvgpr_read_b32 v10, a74                                // 0000000061EC: D3D8400A 1800014A
	v_accvgpr_read_b32 v11, a75                                // 0000000061F4: D3D8400B 1800014B
	v_accvgpr_read_b32 v12, a104                               // 0000000061FC: D3D8400C 18000168
	v_accvgpr_read_b32 v13, a105                               // 000000006204: D3D8400D 18000169
	v_accvgpr_read_b32 v14, a106                               // 00000000620C: D3D8400E 1800016A
	v_accvgpr_read_b32 v15, a107                               // 000000006214: D3D8400F 1800016B
	v_cvt_pk_bf16_f32 v16, v8, v9                              // 00000000621C: D2680010 00021308
	v_cvt_pk_bf16_f32 v17, v10, v11                            // 000000006224: D2680011 0002170A
	v_cvt_pk_bf16_f32 v18, v12, v13                            // 00000000622C: D2680012 00021B0C
	v_cvt_pk_bf16_f32 v19, v14, v15                            // 000000006234: D2680013 00021F0E
	s_nop 1                                                    // 00000000623C: BF800001
	v_permlane16_swap_b32_e32 v16, v18                         // 000000006240: 7E20B312
	s_nop 1                                                    // 000000006244: BF800001
	v_permlane16_swap_b32_e32 v17, v19                         // 000000006248: 7E22B313
	s_nop 1                                                    // 00000000624C: BF800001
	buffer_store_dwordx4 v[16:19], v222, s[4:7], 0 offen       // 000000006250: E07C1000 800110DE
	v_add_i32 v222, v222, 64                                   // 000000006258: D29C00DE 000181DE
	s_addk_i32 s49, 0x1                                        // 000000006260: B7310001
	s_cmp_lt_i32 s49, s50                                      // 000000006264: BF043231
	s_cbranch_scc0 label_11A2                                  // 000000006268: BF840381
	v_accvgpr_read_b32 v8, a12                                 // 00000000626C: D3D84008 1800010C
	v_accvgpr_read_b32 v9, a13                                 // 000000006274: D3D84009 1800010D
	v_accvgpr_read_b32 v10, a14                                // 00000000627C: D3D8400A 1800010E
	v_accvgpr_read_b32 v11, a15                                // 000000006284: D3D8400B 1800010F
	v_accvgpr_read_b32 v12, a44                                // 00000000628C: D3D8400C 1800012C
	v_accvgpr_read_b32 v13, a45                                // 000000006294: D3D8400D 1800012D
	v_accvgpr_read_b32 v14, a46                                // 00000000629C: D3D8400E 1800012E
	v_accvgpr_read_b32 v15, a47                                // 0000000062A4: D3D8400F 1800012F
	v_cvt_pk_bf16_f32 v16, v8, v9                              // 0000000062AC: D2680010 00021308
	v_cvt_pk_bf16_f32 v17, v10, v11                            // 0000000062B4: D2680011 0002170A
	v_cvt_pk_bf16_f32 v18, v12, v13                            // 0000000062BC: D2680012 00021B0C
	v_cvt_pk_bf16_f32 v19, v14, v15                            // 0000000062C4: D2680013 00021F0E
	s_nop 1                                                    // 0000000062CC: BF800001
	v_permlane16_swap_b32_e32 v16, v18                         // 0000000062D0: 7E20B312
	s_nop 1                                                    // 0000000062D4: BF800001
	v_permlane16_swap_b32_e32 v17, v19                         // 0000000062D8: 7E22B313
	s_nop 1                                                    // 0000000062DC: BF800001
	buffer_store_dwordx4 v[16:19], v223, s[4:7], 0 offen       // 0000000062E0: E07C1000 800110DF
	v_add_i32 v223, v223, 64                                   // 0000000062E8: D29C00DF 000181DF
	v_accvgpr_read_b32 v8, a76                                 // 0000000062F0: D3D84008 1800014C
	v_accvgpr_read_b32 v9, a77                                 // 0000000062F8: D3D84009 1800014D
	v_accvgpr_read_b32 v10, a78                                // 000000006300: D3D8400A 1800014E
	v_accvgpr_read_b32 v11, a79                                // 000000006308: D3D8400B 1800014F
	v_accvgpr_read_b32 v12, a108                               // 000000006310: D3D8400C 1800016C
	v_accvgpr_read_b32 v13, a109                               // 000000006318: D3D8400D 1800016D
	v_accvgpr_read_b32 v14, a110                               // 000000006320: D3D8400E 1800016E
	v_accvgpr_read_b32 v15, a111                               // 000000006328: D3D8400F 1800016F
	v_cvt_pk_bf16_f32 v16, v8, v9                              // 000000006330: D2680010 00021308
	v_cvt_pk_bf16_f32 v17, v10, v11                            // 000000006338: D2680011 0002170A
	v_cvt_pk_bf16_f32 v18, v12, v13                            // 000000006340: D2680012 00021B0C
	v_cvt_pk_bf16_f32 v19, v14, v15                            // 000000006348: D2680013 00021F0E
	s_nop 1                                                    // 000000006350: BF800001
	v_permlane16_swap_b32_e32 v16, v18                         // 000000006354: 7E20B312
	s_nop 1                                                    // 000000006358: BF800001
	v_permlane16_swap_b32_e32 v17, v19                         // 00000000635C: 7E22B313
	s_nop 1                                                    // 000000006360: BF800001
	buffer_store_dwordx4 v[16:19], v223, s[4:7], 0 offen       // 000000006364: E07C1000 800110DF
	v_add_i32 v223, v223, 64                                   // 00000000636C: D29C00DF 000181DF
	s_addk_i32 s49, 0x1                                        // 000000006374: B7310001
	s_cmp_lt_i32 s49, s50                                      // 000000006378: BF043231
	s_cbranch_scc0 label_11A2                                  // 00000000637C: BF84033C
	v_accvgpr_read_b32 v8, a16                                 // 000000006380: D3D84008 18000110
	v_accvgpr_read_b32 v9, a17                                 // 000000006388: D3D84009 18000111
	v_accvgpr_read_b32 v10, a18                                // 000000006390: D3D8400A 18000112
	v_accvgpr_read_b32 v11, a19                                // 000000006398: D3D8400B 18000113
	v_accvgpr_read_b32 v12, a48                                // 0000000063A0: D3D8400C 18000130
	v_accvgpr_read_b32 v13, a49                                // 0000000063A8: D3D8400D 18000131
	v_accvgpr_read_b32 v14, a50                                // 0000000063B0: D3D8400E 18000132
	v_accvgpr_read_b32 v15, a51                                // 0000000063B8: D3D8400F 18000133
	v_cvt_pk_bf16_f32 v16, v8, v9                              // 0000000063C0: D2680010 00021308
	v_cvt_pk_bf16_f32 v17, v10, v11                            // 0000000063C8: D2680011 0002170A
	v_cvt_pk_bf16_f32 v18, v12, v13                            // 0000000063D0: D2680012 00021B0C
	v_cvt_pk_bf16_f32 v19, v14, v15                            // 0000000063D8: D2680013 00021F0E
	s_nop 1                                                    // 0000000063E0: BF800001
	v_permlane16_swap_b32_e32 v16, v18                         // 0000000063E4: 7E20B312
	s_nop 1                                                    // 0000000063E8: BF800001
	v_permlane16_swap_b32_e32 v17, v19                         // 0000000063EC: 7E22B313
	s_nop 1                                                    // 0000000063F0: BF800001
	buffer_store_dwordx4 v[16:19], v224, s[4:7], 0 offen       // 0000000063F4: E07C1000 800110E0
	v_add_i32 v224, v224, 64                                   // 0000000063FC: D29C00E0 000181E0
	v_accvgpr_read_b32 v8, a80                                 // 000000006404: D3D84008 18000150
	v_accvgpr_read_b32 v9, a81                                 // 00000000640C: D3D84009 18000151
	v_accvgpr_read_b32 v10, a82                                // 000000006414: D3D8400A 18000152
	v_accvgpr_read_b32 v11, a83                                // 00000000641C: D3D8400B 18000153
	v_accvgpr_read_b32 v12, a112                               // 000000006424: D3D8400C 18000170
	v_accvgpr_read_b32 v13, a113                               // 00000000642C: D3D8400D 18000171
	v_accvgpr_read_b32 v14, a114                               // 000000006434: D3D8400E 18000172
	v_accvgpr_read_b32 v15, a115                               // 00000000643C: D3D8400F 18000173
	v_cvt_pk_bf16_f32 v16, v8, v9                              // 000000006444: D2680010 00021308
	v_cvt_pk_bf16_f32 v17, v10, v11                            // 00000000644C: D2680011 0002170A
	v_cvt_pk_bf16_f32 v18, v12, v13                            // 000000006454: D2680012 00021B0C
	v_cvt_pk_bf16_f32 v19, v14, v15                            // 00000000645C: D2680013 00021F0E
	s_nop 1                                                    // 000000006464: BF800001
	v_permlane16_swap_b32_e32 v16, v18                         // 000000006468: 7E20B312
	s_nop 1                                                    // 00000000646C: BF800001
	v_permlane16_swap_b32_e32 v17, v19                         // 000000006470: 7E22B313
	s_nop 1                                                    // 000000006474: BF800001
	buffer_store_dwordx4 v[16:19], v224, s[4:7], 0 offen       // 000000006478: E07C1000 800110E0
	v_add_i32 v224, v224, 64                                   // 000000006480: D29C00E0 000181E0
	s_addk_i32 s49, 0x1                                        // 000000006488: B7310001
	s_cmp_lt_i32 s49, s50                                      // 00000000648C: BF043231
	s_cbranch_scc0 label_11A2                                  // 000000006490: BF8402F7
	v_accvgpr_read_b32 v8, a20                                 // 000000006494: D3D84008 18000114
	v_accvgpr_read_b32 v9, a21                                 // 00000000649C: D3D84009 18000115
	v_accvgpr_read_b32 v10, a22                                // 0000000064A4: D3D8400A 18000116
	v_accvgpr_read_b32 v11, a23                                // 0000000064AC: D3D8400B 18000117
	v_accvgpr_read_b32 v12, a52                                // 0000000064B4: D3D8400C 18000134
	v_accvgpr_read_b32 v13, a53                                // 0000000064BC: D3D8400D 18000135
	v_accvgpr_read_b32 v14, a54                                // 0000000064C4: D3D8400E 18000136
	v_accvgpr_read_b32 v15, a55                                // 0000000064CC: D3D8400F 18000137
	v_cvt_pk_bf16_f32 v16, v8, v9                              // 0000000064D4: D2680010 00021308
	v_cvt_pk_bf16_f32 v17, v10, v11                            // 0000000064DC: D2680011 0002170A
	v_cvt_pk_bf16_f32 v18, v12, v13                            // 0000000064E4: D2680012 00021B0C
	v_cvt_pk_bf16_f32 v19, v14, v15                            // 0000000064EC: D2680013 00021F0E
	s_nop 1                                                    // 0000000064F4: BF800001
	v_permlane16_swap_b32_e32 v16, v18                         // 0000000064F8: 7E20B312
	s_nop 1                                                    // 0000000064FC: BF800001
	v_permlane16_swap_b32_e32 v17, v19                         // 000000006500: 7E22B313
	s_nop 1                                                    // 000000006504: BF800001
	buffer_store_dwordx4 v[16:19], v225, s[4:7], 0 offen       // 000000006508: E07C1000 800110E1
	v_add_i32 v225, v225, 64                                   // 000000006510: D29C00E1 000181E1
	v_accvgpr_read_b32 v8, a84                                 // 000000006518: D3D84008 18000154
	v_accvgpr_read_b32 v9, a85                                 // 000000006520: D3D84009 18000155
	v_accvgpr_read_b32 v10, a86                                // 000000006528: D3D8400A 18000156
	v_accvgpr_read_b32 v11, a87                                // 000000006530: D3D8400B 18000157
	v_accvgpr_read_b32 v12, a116                               // 000000006538: D3D8400C 18000174
	v_accvgpr_read_b32 v13, a117                               // 000000006540: D3D8400D 18000175
	v_accvgpr_read_b32 v14, a118                               // 000000006548: D3D8400E 18000176
	v_accvgpr_read_b32 v15, a119                               // 000000006550: D3D8400F 18000177
	v_cvt_pk_bf16_f32 v16, v8, v9                              // 000000006558: D2680010 00021308
	v_cvt_pk_bf16_f32 v17, v10, v11                            // 000000006560: D2680011 0002170A
	v_cvt_pk_bf16_f32 v18, v12, v13                            // 000000006568: D2680012 00021B0C
	v_cvt_pk_bf16_f32 v19, v14, v15                            // 000000006570: D2680013 00021F0E
	s_nop 1                                                    // 000000006578: BF800001
	v_permlane16_swap_b32_e32 v16, v18                         // 00000000657C: 7E20B312
	s_nop 1                                                    // 000000006580: BF800001
	v_permlane16_swap_b32_e32 v17, v19                         // 000000006584: 7E22B313
	s_nop 1                                                    // 000000006588: BF800001
	buffer_store_dwordx4 v[16:19], v225, s[4:7], 0 offen       // 00000000658C: E07C1000 800110E1
	v_add_i32 v225, v225, 64                                   // 000000006594: D29C00E1 000181E1
	s_addk_i32 s49, 0x1                                        // 00000000659C: B7310001
	s_cmp_lt_i32 s49, s50                                      // 0000000065A0: BF043231
	s_cbranch_scc0 label_11A2                                  // 0000000065A4: BF8402B2
	v_accvgpr_read_b32 v8, a24                                 // 0000000065A8: D3D84008 18000118
	v_accvgpr_read_b32 v9, a25                                 // 0000000065B0: D3D84009 18000119
	v_accvgpr_read_b32 v10, a26                                // 0000000065B8: D3D8400A 1800011A
	v_accvgpr_read_b32 v11, a27                                // 0000000065C0: D3D8400B 1800011B
	v_accvgpr_read_b32 v12, a56                                // 0000000065C8: D3D8400C 18000138
	v_accvgpr_read_b32 v13, a57                                // 0000000065D0: D3D8400D 18000139
	v_accvgpr_read_b32 v14, a58                                // 0000000065D8: D3D8400E 1800013A
	v_accvgpr_read_b32 v15, a59                                // 0000000065E0: D3D8400F 1800013B
	v_cvt_pk_bf16_f32 v16, v8, v9                              // 0000000065E8: D2680010 00021308
	v_cvt_pk_bf16_f32 v17, v10, v11                            // 0000000065F0: D2680011 0002170A
	v_cvt_pk_bf16_f32 v18, v12, v13                            // 0000000065F8: D2680012 00021B0C
	v_cvt_pk_bf16_f32 v19, v14, v15                            // 000000006600: D2680013 00021F0E
	s_nop 1                                                    // 000000006608: BF800001
	v_permlane16_swap_b32_e32 v16, v18                         // 00000000660C: 7E20B312
	s_nop 1                                                    // 000000006610: BF800001
	v_permlane16_swap_b32_e32 v17, v19                         // 000000006614: 7E22B313
	s_nop 1                                                    // 000000006618: BF800001
	buffer_store_dwordx4 v[16:19], v226, s[4:7], 0 offen       // 00000000661C: E07C1000 800110E2
	v_add_i32 v226, v226, 64                                   // 000000006624: D29C00E2 000181E2
	v_accvgpr_read_b32 v8, a88                                 // 00000000662C: D3D84008 18000158
	v_accvgpr_read_b32 v9, a89                                 // 000000006634: D3D84009 18000159
	v_accvgpr_read_b32 v10, a90                                // 00000000663C: D3D8400A 1800015A
	v_accvgpr_read_b32 v11, a91                                // 000000006644: D3D8400B 1800015B
	v_accvgpr_read_b32 v12, a120                               // 00000000664C: D3D8400C 18000178
	v_accvgpr_read_b32 v13, a121                               // 000000006654: D3D8400D 18000179
	v_accvgpr_read_b32 v14, a122                               // 00000000665C: D3D8400E 1800017A
	v_accvgpr_read_b32 v15, a123                               // 000000006664: D3D8400F 1800017B
	v_cvt_pk_bf16_f32 v16, v8, v9                              // 00000000666C: D2680010 00021308
	v_cvt_pk_bf16_f32 v17, v10, v11                            // 000000006674: D2680011 0002170A
	v_cvt_pk_bf16_f32 v18, v12, v13                            // 00000000667C: D2680012 00021B0C
	v_cvt_pk_bf16_f32 v19, v14, v15                            // 000000006684: D2680013 00021F0E
	s_nop 1                                                    // 00000000668C: BF800001
	v_permlane16_swap_b32_e32 v16, v18                         // 000000006690: 7E20B312
	s_nop 1                                                    // 000000006694: BF800001
	v_permlane16_swap_b32_e32 v17, v19                         // 000000006698: 7E22B313
	s_nop 1                                                    // 00000000669C: BF800001
	buffer_store_dwordx4 v[16:19], v226, s[4:7], 0 offen       // 0000000066A0: E07C1000 800110E2
	v_add_i32 v226, v226, 64                                   // 0000000066A8: D29C00E2 000181E2
	s_addk_i32 s49, 0x1                                        // 0000000066B0: B7310001
	s_cmp_lt_i32 s49, s50                                      // 0000000066B4: BF043231
	s_cbranch_scc0 label_11A2                                  // 0000000066B8: BF84026D
	v_accvgpr_read_b32 v8, a28                                 // 0000000066BC: D3D84008 1800011C
	v_accvgpr_read_b32 v9, a29                                 // 0000000066C4: D3D84009 1800011D
	v_accvgpr_read_b32 v10, a30                                // 0000000066CC: D3D8400A 1800011E
	v_accvgpr_read_b32 v11, a31                                // 0000000066D4: D3D8400B 1800011F
	v_accvgpr_read_b32 v12, a60                                // 0000000066DC: D3D8400C 1800013C
	v_accvgpr_read_b32 v13, a61                                // 0000000066E4: D3D8400D 1800013D
	v_accvgpr_read_b32 v14, a62                                // 0000000066EC: D3D8400E 1800013E
	v_accvgpr_read_b32 v15, a63                                // 0000000066F4: D3D8400F 1800013F
	v_cvt_pk_bf16_f32 v16, v8, v9                              // 0000000066FC: D2680010 00021308
	v_cvt_pk_bf16_f32 v17, v10, v11                            // 000000006704: D2680011 0002170A
	v_cvt_pk_bf16_f32 v18, v12, v13                            // 00000000670C: D2680012 00021B0C
	v_cvt_pk_bf16_f32 v19, v14, v15                            // 000000006714: D2680013 00021F0E
	s_nop 1                                                    // 00000000671C: BF800001
	v_permlane16_swap_b32_e32 v16, v18                         // 000000006720: 7E20B312
	s_nop 1                                                    // 000000006724: BF800001
	v_permlane16_swap_b32_e32 v17, v19                         // 000000006728: 7E22B313
	s_nop 1                                                    // 00000000672C: BF800001
	buffer_store_dwordx4 v[16:19], v227, s[4:7], 0 offen       // 000000006730: E07C1000 800110E3
	v_add_i32 v227, v227, 64                                   // 000000006738: D29C00E3 000181E3
	v_accvgpr_read_b32 v8, a92                                 // 000000006740: D3D84008 1800015C
	v_accvgpr_read_b32 v9, a93                                 // 000000006748: D3D84009 1800015D
	v_accvgpr_read_b32 v10, a94                                // 000000006750: D3D8400A 1800015E
	v_accvgpr_read_b32 v11, a95                                // 000000006758: D3D8400B 1800015F
	v_accvgpr_read_b32 v12, a124                               // 000000006760: D3D8400C 1800017C
	v_accvgpr_read_b32 v13, a125                               // 000000006768: D3D8400D 1800017D
	v_accvgpr_read_b32 v14, a126                               // 000000006770: D3D8400E 1800017E
	v_accvgpr_read_b32 v15, a127                               // 000000006778: D3D8400F 1800017F
	v_cvt_pk_bf16_f32 v16, v8, v9                              // 000000006780: D2680010 00021308
	v_cvt_pk_bf16_f32 v17, v10, v11                            // 000000006788: D2680011 0002170A
	v_cvt_pk_bf16_f32 v18, v12, v13                            // 000000006790: D2680012 00021B0C
	v_cvt_pk_bf16_f32 v19, v14, v15                            // 000000006798: D2680013 00021F0E
	s_nop 1                                                    // 0000000067A0: BF800001
	v_permlane16_swap_b32_e32 v16, v18                         // 0000000067A4: 7E20B312
	s_nop 1                                                    // 0000000067A8: BF800001
	v_permlane16_swap_b32_e32 v17, v19                         // 0000000067AC: 7E22B313
	s_nop 1                                                    // 0000000067B0: BF800001
	buffer_store_dwordx4 v[16:19], v227, s[4:7], 0 offen       // 0000000067B4: E07C1000 800110E3
	v_add_i32 v227, v227, 64                                   // 0000000067BC: D29C00E3 000181E3
	s_addk_i32 s49, 0x1                                        // 0000000067C4: B7310001
	s_cmp_lt_i32 s49, s50                                      // 0000000067C8: BF043231
	s_cbranch_scc0 label_11A2                                  // 0000000067CC: BF840228
	v_accvgpr_read_b32 v8, a128                                // 0000000067D0: D3D84008 18000180
	v_accvgpr_read_b32 v9, a129                                // 0000000067D8: D3D84009 18000181
	v_accvgpr_read_b32 v10, a130                               // 0000000067E0: D3D8400A 18000182
	v_accvgpr_read_b32 v11, a131                               // 0000000067E8: D3D8400B 18000183
	v_accvgpr_read_b32 v12, a160                               // 0000000067F0: D3D8400C 180001A0
	v_accvgpr_read_b32 v13, a161                               // 0000000067F8: D3D8400D 180001A1
	v_accvgpr_read_b32 v14, a162                               // 000000006800: D3D8400E 180001A2
	v_accvgpr_read_b32 v15, a163                               // 000000006808: D3D8400F 180001A3
	v_cvt_pk_bf16_f32 v16, v8, v9                              // 000000006810: D2680010 00021308
	v_cvt_pk_bf16_f32 v17, v10, v11                            // 000000006818: D2680011 0002170A
	v_cvt_pk_bf16_f32 v18, v12, v13                            // 000000006820: D2680012 00021B0C
	v_cvt_pk_bf16_f32 v19, v14, v15                            // 000000006828: D2680013 00021F0E
	s_nop 1                                                    // 000000006830: BF800001
	v_permlane16_swap_b32_e32 v16, v18                         // 000000006834: 7E20B312
	s_nop 1                                                    // 000000006838: BF800001
	v_permlane16_swap_b32_e32 v17, v19                         // 00000000683C: 7E22B313
	s_nop 1                                                    // 000000006840: BF800001
	buffer_store_dwordx4 v[16:19], v228, s[4:7], 0 offen       // 000000006844: E07C1000 800110E4
	v_add_i32 v228, v228, 64                                   // 00000000684C: D29C00E4 000181E4
	v_accvgpr_read_b32 v8, a192                                // 000000006854: D3D84008 180001C0
	v_accvgpr_read_b32 v9, a193                                // 00000000685C: D3D84009 180001C1
	v_accvgpr_read_b32 v10, a194                               // 000000006864: D3D8400A 180001C2
	v_accvgpr_read_b32 v11, a195                               // 00000000686C: D3D8400B 180001C3
	v_accvgpr_read_b32 v12, a224                               // 000000006874: D3D8400C 180001E0
	v_accvgpr_read_b32 v13, a225                               // 00000000687C: D3D8400D 180001E1
	v_accvgpr_read_b32 v14, a226                               // 000000006884: D3D8400E 180001E2
	v_accvgpr_read_b32 v15, a227                               // 00000000688C: D3D8400F 180001E3
	v_cvt_pk_bf16_f32 v16, v8, v9                              // 000000006894: D2680010 00021308
	v_cvt_pk_bf16_f32 v17, v10, v11                            // 00000000689C: D2680011 0002170A
	v_cvt_pk_bf16_f32 v18, v12, v13                            // 0000000068A4: D2680012 00021B0C
	v_cvt_pk_bf16_f32 v19, v14, v15                            // 0000000068AC: D2680013 00021F0E
	s_nop 1                                                    // 0000000068B4: BF800001
	v_permlane16_swap_b32_e32 v16, v18                         // 0000000068B8: 7E20B312
	s_nop 1                                                    // 0000000068BC: BF800001
	v_permlane16_swap_b32_e32 v17, v19                         // 0000000068C0: 7E22B313
	s_nop 1                                                    // 0000000068C4: BF800001
	buffer_store_dwordx4 v[16:19], v228, s[4:7], 0 offen       // 0000000068C8: E07C1000 800110E4
	v_add_i32 v228, v228, 64                                   // 0000000068D0: D29C00E4 000181E4
	s_addk_i32 s49, 0x1                                        // 0000000068D8: B7310001
	s_cmp_lt_i32 s49, s50                                      // 0000000068DC: BF043231
	s_cbranch_scc0 label_11A2                                  // 0000000068E0: BF8401E3
	v_accvgpr_read_b32 v8, a132                                // 0000000068E4: D3D84008 18000184
	v_accvgpr_read_b32 v9, a133                                // 0000000068EC: D3D84009 18000185
	v_accvgpr_read_b32 v10, a134                               // 0000000068F4: D3D8400A 18000186
	v_accvgpr_read_b32 v11, a135                               // 0000000068FC: D3D8400B 18000187
	v_accvgpr_read_b32 v12, a164                               // 000000006904: D3D8400C 180001A4
	v_accvgpr_read_b32 v13, a165                               // 00000000690C: D3D8400D 180001A5
	v_accvgpr_read_b32 v14, a166                               // 000000006914: D3D8400E 180001A6
	v_accvgpr_read_b32 v15, a167                               // 00000000691C: D3D8400F 180001A7
	v_cvt_pk_bf16_f32 v16, v8, v9                              // 000000006924: D2680010 00021308
	v_cvt_pk_bf16_f32 v17, v10, v11                            // 00000000692C: D2680011 0002170A
	v_cvt_pk_bf16_f32 v18, v12, v13                            // 000000006934: D2680012 00021B0C
	v_cvt_pk_bf16_f32 v19, v14, v15                            // 00000000693C: D2680013 00021F0E
	s_nop 1                                                    // 000000006944: BF800001
	v_permlane16_swap_b32_e32 v16, v18                         // 000000006948: 7E20B312
	s_nop 1                                                    // 00000000694C: BF800001
	v_permlane16_swap_b32_e32 v17, v19                         // 000000006950: 7E22B313
	s_nop 1                                                    // 000000006954: BF800001
	buffer_store_dwordx4 v[16:19], v229, s[4:7], 0 offen       // 000000006958: E07C1000 800110E5
	v_add_i32 v229, v229, 64                                   // 000000006960: D29C00E5 000181E5
	v_accvgpr_read_b32 v8, a196                                // 000000006968: D3D84008 180001C4
	v_accvgpr_read_b32 v9, a197                                // 000000006970: D3D84009 180001C5
	v_accvgpr_read_b32 v10, a198                               // 000000006978: D3D8400A 180001C6
	v_accvgpr_read_b32 v11, a199                               // 000000006980: D3D8400B 180001C7
	v_accvgpr_read_b32 v12, a228                               // 000000006988: D3D8400C 180001E4
	v_accvgpr_read_b32 v13, a229                               // 000000006990: D3D8400D 180001E5
	v_accvgpr_read_b32 v14, a230                               // 000000006998: D3D8400E 180001E6
	v_accvgpr_read_b32 v15, a231                               // 0000000069A0: D3D8400F 180001E7
	v_cvt_pk_bf16_f32 v16, v8, v9                              // 0000000069A8: D2680010 00021308
	v_cvt_pk_bf16_f32 v17, v10, v11                            // 0000000069B0: D2680011 0002170A
	v_cvt_pk_bf16_f32 v18, v12, v13                            // 0000000069B8: D2680012 00021B0C
	v_cvt_pk_bf16_f32 v19, v14, v15                            // 0000000069C0: D2680013 00021F0E
	s_nop 1                                                    // 0000000069C8: BF800001
	v_permlane16_swap_b32_e32 v16, v18                         // 0000000069CC: 7E20B312
	s_nop 1                                                    // 0000000069D0: BF800001
	v_permlane16_swap_b32_e32 v17, v19                         // 0000000069D4: 7E22B313
	s_nop 1                                                    // 0000000069D8: BF800001
	buffer_store_dwordx4 v[16:19], v229, s[4:7], 0 offen       // 0000000069DC: E07C1000 800110E5
	v_add_i32 v229, v229, 64                                   // 0000000069E4: D29C00E5 000181E5
	s_addk_i32 s49, 0x1                                        // 0000000069EC: B7310001
	s_cmp_lt_i32 s49, s50                                      // 0000000069F0: BF043231
	s_cbranch_scc0 label_11A2                                  // 0000000069F4: BF84019E
	v_accvgpr_read_b32 v8, a136                                // 0000000069F8: D3D84008 18000188
	v_accvgpr_read_b32 v9, a137                                // 000000006A00: D3D84009 18000189
	v_accvgpr_read_b32 v10, a138                               // 000000006A08: D3D8400A 1800018A
	v_accvgpr_read_b32 v11, a139                               // 000000006A10: D3D8400B 1800018B
	v_accvgpr_read_b32 v12, a168                               // 000000006A18: D3D8400C 180001A8
	v_accvgpr_read_b32 v13, a169                               // 000000006A20: D3D8400D 180001A9
	v_accvgpr_read_b32 v14, a170                               // 000000006A28: D3D8400E 180001AA
	v_accvgpr_read_b32 v15, a171                               // 000000006A30: D3D8400F 180001AB
	v_cvt_pk_bf16_f32 v16, v8, v9                              // 000000006A38: D2680010 00021308
	v_cvt_pk_bf16_f32 v17, v10, v11                            // 000000006A40: D2680011 0002170A
	v_cvt_pk_bf16_f32 v18, v12, v13                            // 000000006A48: D2680012 00021B0C
	v_cvt_pk_bf16_f32 v19, v14, v15                            // 000000006A50: D2680013 00021F0E
	s_nop 1                                                    // 000000006A58: BF800001
	v_permlane16_swap_b32_e32 v16, v18                         // 000000006A5C: 7E20B312
	s_nop 1                                                    // 000000006A60: BF800001
	v_permlane16_swap_b32_e32 v17, v19                         // 000000006A64: 7E22B313
	s_nop 1                                                    // 000000006A68: BF800001
	buffer_store_dwordx4 v[16:19], v230, s[4:7], 0 offen       // 000000006A6C: E07C1000 800110E6
	v_add_i32 v230, v230, 64                                   // 000000006A74: D29C00E6 000181E6
	v_accvgpr_read_b32 v8, a200                                // 000000006A7C: D3D84008 180001C8
	v_accvgpr_read_b32 v9, a201                                // 000000006A84: D3D84009 180001C9
	v_accvgpr_read_b32 v10, a202                               // 000000006A8C: D3D8400A 180001CA
	v_accvgpr_read_b32 v11, a203                               // 000000006A94: D3D8400B 180001CB
	v_accvgpr_read_b32 v12, a232                               // 000000006A9C: D3D8400C 180001E8
	v_accvgpr_read_b32 v13, a233                               // 000000006AA4: D3D8400D 180001E9
	v_accvgpr_read_b32 v14, a234                               // 000000006AAC: D3D8400E 180001EA
	v_accvgpr_read_b32 v15, a235                               // 000000006AB4: D3D8400F 180001EB
	v_cvt_pk_bf16_f32 v16, v8, v9                              // 000000006ABC: D2680010 00021308
	v_cvt_pk_bf16_f32 v17, v10, v11                            // 000000006AC4: D2680011 0002170A
	v_cvt_pk_bf16_f32 v18, v12, v13                            // 000000006ACC: D2680012 00021B0C
	v_cvt_pk_bf16_f32 v19, v14, v15                            // 000000006AD4: D2680013 00021F0E
	s_nop 1                                                    // 000000006ADC: BF800001
	v_permlane16_swap_b32_e32 v16, v18                         // 000000006AE0: 7E20B312
	s_nop 1                                                    // 000000006AE4: BF800001
	v_permlane16_swap_b32_e32 v17, v19                         // 000000006AE8: 7E22B313
	s_nop 1                                                    // 000000006AEC: BF800001
	buffer_store_dwordx4 v[16:19], v230, s[4:7], 0 offen       // 000000006AF0: E07C1000 800110E6
	v_add_i32 v230, v230, 64                                   // 000000006AF8: D29C00E6 000181E6
	s_addk_i32 s49, 0x1                                        // 000000006B00: B7310001
	s_cmp_lt_i32 s49, s50                                      // 000000006B04: BF043231
	s_cbranch_scc0 label_11A2                                  // 000000006B08: BF840159
	v_accvgpr_read_b32 v8, a140                                // 000000006B0C: D3D84008 1800018C
	v_accvgpr_read_b32 v9, a141                                // 000000006B14: D3D84009 1800018D
	v_accvgpr_read_b32 v10, a142                               // 000000006B1C: D3D8400A 1800018E
	v_accvgpr_read_b32 v11, a143                               // 000000006B24: D3D8400B 1800018F
	v_accvgpr_read_b32 v12, a172                               // 000000006B2C: D3D8400C 180001AC
	v_accvgpr_read_b32 v13, a173                               // 000000006B34: D3D8400D 180001AD
	v_accvgpr_read_b32 v14, a174                               // 000000006B3C: D3D8400E 180001AE
	v_accvgpr_read_b32 v15, a175                               // 000000006B44: D3D8400F 180001AF
	v_cvt_pk_bf16_f32 v16, v8, v9                              // 000000006B4C: D2680010 00021308
	v_cvt_pk_bf16_f32 v17, v10, v11                            // 000000006B54: D2680011 0002170A
	v_cvt_pk_bf16_f32 v18, v12, v13                            // 000000006B5C: D2680012 00021B0C
	v_cvt_pk_bf16_f32 v19, v14, v15                            // 000000006B64: D2680013 00021F0E
	s_nop 1                                                    // 000000006B6C: BF800001
	v_permlane16_swap_b32_e32 v16, v18                         // 000000006B70: 7E20B312
	s_nop 1                                                    // 000000006B74: BF800001
	v_permlane16_swap_b32_e32 v17, v19                         // 000000006B78: 7E22B313
	s_nop 1                                                    // 000000006B7C: BF800001
	buffer_store_dwordx4 v[16:19], v231, s[4:7], 0 offen       // 000000006B80: E07C1000 800110E7
	v_add_i32 v231, v231, 64                                   // 000000006B88: D29C00E7 000181E7
	v_accvgpr_read_b32 v8, a204                                // 000000006B90: D3D84008 180001CC
	v_accvgpr_read_b32 v9, a205                                // 000000006B98: D3D84009 180001CD
	v_accvgpr_read_b32 v10, a206                               // 000000006BA0: D3D8400A 180001CE
	v_accvgpr_read_b32 v11, a207                               // 000000006BA8: D3D8400B 180001CF
	v_accvgpr_read_b32 v12, a236                               // 000000006BB0: D3D8400C 180001EC
	v_accvgpr_read_b32 v13, a237                               // 000000006BB8: D3D8400D 180001ED
	v_accvgpr_read_b32 v14, a238                               // 000000006BC0: D3D8400E 180001EE
	v_accvgpr_read_b32 v15, a239                               // 000000006BC8: D3D8400F 180001EF
	v_cvt_pk_bf16_f32 v16, v8, v9                              // 000000006BD0: D2680010 00021308
	v_cvt_pk_bf16_f32 v17, v10, v11                            // 000000006BD8: D2680011 0002170A
	v_cvt_pk_bf16_f32 v18, v12, v13                            // 000000006BE0: D2680012 00021B0C
	v_cvt_pk_bf16_f32 v19, v14, v15                            // 000000006BE8: D2680013 00021F0E
	s_nop 1                                                    // 000000006BF0: BF800001
	v_permlane16_swap_b32_e32 v16, v18                         // 000000006BF4: 7E20B312
	s_nop 1                                                    // 000000006BF8: BF800001
	v_permlane16_swap_b32_e32 v17, v19                         // 000000006BFC: 7E22B313
	s_nop 1                                                    // 000000006C00: BF800001
	buffer_store_dwordx4 v[16:19], v231, s[4:7], 0 offen       // 000000006C04: E07C1000 800110E7
	v_add_i32 v231, v231, 64                                   // 000000006C0C: D29C00E7 000181E7
	s_addk_i32 s49, 0x1                                        // 000000006C14: B7310001
	s_cmp_lt_i32 s49, s50                                      // 000000006C18: BF043231
	s_cbranch_scc0 label_11A2                                  // 000000006C1C: BF840114
	v_accvgpr_read_b32 v8, a144                                // 000000006C20: D3D84008 18000190
	v_accvgpr_read_b32 v9, a145                                // 000000006C28: D3D84009 18000191
	v_accvgpr_read_b32 v10, a146                               // 000000006C30: D3D8400A 18000192
	v_accvgpr_read_b32 v11, a147                               // 000000006C38: D3D8400B 18000193
	v_accvgpr_read_b32 v12, a176                               // 000000006C40: D3D8400C 180001B0
	v_accvgpr_read_b32 v13, a177                               // 000000006C48: D3D8400D 180001B1
	v_accvgpr_read_b32 v14, a178                               // 000000006C50: D3D8400E 180001B2
	v_accvgpr_read_b32 v15, a179                               // 000000006C58: D3D8400F 180001B3
	v_cvt_pk_bf16_f32 v16, v8, v9                              // 000000006C60: D2680010 00021308
	v_cvt_pk_bf16_f32 v17, v10, v11                            // 000000006C68: D2680011 0002170A
	v_cvt_pk_bf16_f32 v18, v12, v13                            // 000000006C70: D2680012 00021B0C
	v_cvt_pk_bf16_f32 v19, v14, v15                            // 000000006C78: D2680013 00021F0E
	s_nop 1                                                    // 000000006C80: BF800001
	v_permlane16_swap_b32_e32 v16, v18                         // 000000006C84: 7E20B312
	s_nop 1                                                    // 000000006C88: BF800001
	v_permlane16_swap_b32_e32 v17, v19                         // 000000006C8C: 7E22B313
	s_nop 1                                                    // 000000006C90: BF800001
	buffer_store_dwordx4 v[16:19], v232, s[4:7], 0 offen       // 000000006C94: E07C1000 800110E8
	v_add_i32 v232, v232, 64                                   // 000000006C9C: D29C00E8 000181E8
	v_accvgpr_read_b32 v8, a208                                // 000000006CA4: D3D84008 180001D0
	v_accvgpr_read_b32 v9, a209                                // 000000006CAC: D3D84009 180001D1
	v_accvgpr_read_b32 v10, a210                               // 000000006CB4: D3D8400A 180001D2
	v_accvgpr_read_b32 v11, a211                               // 000000006CBC: D3D8400B 180001D3
	v_accvgpr_read_b32 v12, a240                               // 000000006CC4: D3D8400C 180001F0
	v_accvgpr_read_b32 v13, a241                               // 000000006CCC: D3D8400D 180001F1
	v_accvgpr_read_b32 v14, a242                               // 000000006CD4: D3D8400E 180001F2
	v_accvgpr_read_b32 v15, a243                               // 000000006CDC: D3D8400F 180001F3
	v_cvt_pk_bf16_f32 v16, v8, v9                              // 000000006CE4: D2680010 00021308
	v_cvt_pk_bf16_f32 v17, v10, v11                            // 000000006CEC: D2680011 0002170A
	v_cvt_pk_bf16_f32 v18, v12, v13                            // 000000006CF4: D2680012 00021B0C
	v_cvt_pk_bf16_f32 v19, v14, v15                            // 000000006CFC: D2680013 00021F0E
	s_nop 1                                                    // 000000006D04: BF800001
	v_permlane16_swap_b32_e32 v16, v18                         // 000000006D08: 7E20B312
	s_nop 1                                                    // 000000006D0C: BF800001
	v_permlane16_swap_b32_e32 v17, v19                         // 000000006D10: 7E22B313
	s_nop 1                                                    // 000000006D14: BF800001
	buffer_store_dwordx4 v[16:19], v232, s[4:7], 0 offen       // 000000006D18: E07C1000 800110E8
	v_add_i32 v232, v232, 64                                   // 000000006D20: D29C00E8 000181E8
	s_addk_i32 s49, 0x1                                        // 000000006D28: B7310001
	s_cmp_lt_i32 s49, s50                                      // 000000006D2C: BF043231
	s_cbranch_scc0 label_11A2                                  // 000000006D30: BF8400CF
	v_accvgpr_read_b32 v8, a148                                // 000000006D34: D3D84008 18000194
	v_accvgpr_read_b32 v9, a149                                // 000000006D3C: D3D84009 18000195
	v_accvgpr_read_b32 v10, a150                               // 000000006D44: D3D8400A 18000196
	v_accvgpr_read_b32 v11, a151                               // 000000006D4C: D3D8400B 18000197
	v_accvgpr_read_b32 v12, a180                               // 000000006D54: D3D8400C 180001B4
	v_accvgpr_read_b32 v13, a181                               // 000000006D5C: D3D8400D 180001B5
	v_accvgpr_read_b32 v14, a182                               // 000000006D64: D3D8400E 180001B6
	v_accvgpr_read_b32 v15, a183                               // 000000006D6C: D3D8400F 180001B7
	v_cvt_pk_bf16_f32 v16, v8, v9                              // 000000006D74: D2680010 00021308
	v_cvt_pk_bf16_f32 v17, v10, v11                            // 000000006D7C: D2680011 0002170A
	v_cvt_pk_bf16_f32 v18, v12, v13                            // 000000006D84: D2680012 00021B0C
	v_cvt_pk_bf16_f32 v19, v14, v15                            // 000000006D8C: D2680013 00021F0E
	s_nop 1                                                    // 000000006D94: BF800001
	v_permlane16_swap_b32_e32 v16, v18                         // 000000006D98: 7E20B312
	s_nop 1                                                    // 000000006D9C: BF800001
	v_permlane16_swap_b32_e32 v17, v19                         // 000000006DA0: 7E22B313
	s_nop 1                                                    // 000000006DA4: BF800001
	buffer_store_dwordx4 v[16:19], v233, s[4:7], 0 offen       // 000000006DA8: E07C1000 800110E9
	v_add_i32 v233, v233, 64                                   // 000000006DB0: D29C00E9 000181E9
	v_accvgpr_read_b32 v8, a212                                // 000000006DB8: D3D84008 180001D4
	v_accvgpr_read_b32 v9, a213                                // 000000006DC0: D3D84009 180001D5
	v_accvgpr_read_b32 v10, a214                               // 000000006DC8: D3D8400A 180001D6
	v_accvgpr_read_b32 v11, a215                               // 000000006DD0: D3D8400B 180001D7
	v_accvgpr_read_b32 v12, a244                               // 000000006DD8: D3D8400C 180001F4
	v_accvgpr_read_b32 v13, a245                               // 000000006DE0: D3D8400D 180001F5
	v_accvgpr_read_b32 v14, a246                               // 000000006DE8: D3D8400E 180001F6
	v_accvgpr_read_b32 v15, a247                               // 000000006DF0: D3D8400F 180001F7
	v_cvt_pk_bf16_f32 v16, v8, v9                              // 000000006DF8: D2680010 00021308
	v_cvt_pk_bf16_f32 v17, v10, v11                            // 000000006E00: D2680011 0002170A
	v_cvt_pk_bf16_f32 v18, v12, v13                            // 000000006E08: D2680012 00021B0C
	v_cvt_pk_bf16_f32 v19, v14, v15                            // 000000006E10: D2680013 00021F0E
	s_nop 1                                                    // 000000006E18: BF800001
	v_permlane16_swap_b32_e32 v16, v18                         // 000000006E1C: 7E20B312
	s_nop 1                                                    // 000000006E20: BF800001
	v_permlane16_swap_b32_e32 v17, v19                         // 000000006E24: 7E22B313
	s_nop 1                                                    // 000000006E28: BF800001
	buffer_store_dwordx4 v[16:19], v233, s[4:7], 0 offen       // 000000006E2C: E07C1000 800110E9
	v_add_i32 v233, v233, 64                                   // 000000006E34: D29C00E9 000181E9
	s_addk_i32 s49, 0x1                                        // 000000006E3C: B7310001
	s_cmp_lt_i32 s49, s50                                      // 000000006E40: BF043231
	s_cbranch_scc0 label_11A2                                  // 000000006E44: BF84008A
	v_accvgpr_read_b32 v8, a152                                // 000000006E48: D3D84008 18000198
	v_accvgpr_read_b32 v9, a153                                // 000000006E50: D3D84009 18000199
	v_accvgpr_read_b32 v10, a154                               // 000000006E58: D3D8400A 1800019A
	v_accvgpr_read_b32 v11, a155                               // 000000006E60: D3D8400B 1800019B
	v_accvgpr_read_b32 v12, a184                               // 000000006E68: D3D8400C 180001B8
	v_accvgpr_read_b32 v13, a185                               // 000000006E70: D3D8400D 180001B9
	v_accvgpr_read_b32 v14, a186                               // 000000006E78: D3D8400E 180001BA
	v_accvgpr_read_b32 v15, a187                               // 000000006E80: D3D8400F 180001BB
	v_cvt_pk_bf16_f32 v16, v8, v9                              // 000000006E88: D2680010 00021308
	v_cvt_pk_bf16_f32 v17, v10, v11                            // 000000006E90: D2680011 0002170A
	v_cvt_pk_bf16_f32 v18, v12, v13                            // 000000006E98: D2680012 00021B0C
	v_cvt_pk_bf16_f32 v19, v14, v15                            // 000000006EA0: D2680013 00021F0E
	s_nop 1                                                    // 000000006EA8: BF800001
	v_permlane16_swap_b32_e32 v16, v18                         // 000000006EAC: 7E20B312
	s_nop 1                                                    // 000000006EB0: BF800001
	v_permlane16_swap_b32_e32 v17, v19                         // 000000006EB4: 7E22B313
	s_nop 1                                                    // 000000006EB8: BF800001
	buffer_store_dwordx4 v[16:19], v234, s[4:7], 0 offen       // 000000006EBC: E07C1000 800110EA
	v_add_i32 v234, v234, 64                                   // 000000006EC4: D29C00EA 000181EA
	v_accvgpr_read_b32 v8, a216                                // 000000006ECC: D3D84008 180001D8
	v_accvgpr_read_b32 v9, a217                                // 000000006ED4: D3D84009 180001D9
	v_accvgpr_read_b32 v10, a218                               // 000000006EDC: D3D8400A 180001DA
	v_accvgpr_read_b32 v11, a219                               // 000000006EE4: D3D8400B 180001DB
	v_accvgpr_read_b32 v12, a248                               // 000000006EEC: D3D8400C 180001F8
	v_accvgpr_read_b32 v13, a249                               // 000000006EF4: D3D8400D 180001F9
	v_accvgpr_read_b32 v14, a250                               // 000000006EFC: D3D8400E 180001FA
	v_accvgpr_read_b32 v15, a251                               // 000000006F04: D3D8400F 180001FB
	v_cvt_pk_bf16_f32 v16, v8, v9                              // 000000006F0C: D2680010 00021308
	v_cvt_pk_bf16_f32 v17, v10, v11                            // 000000006F14: D2680011 0002170A
	v_cvt_pk_bf16_f32 v18, v12, v13                            // 000000006F1C: D2680012 00021B0C
	v_cvt_pk_bf16_f32 v19, v14, v15                            // 000000006F24: D2680013 00021F0E
	s_nop 1                                                    // 000000006F2C: BF800001
	v_permlane16_swap_b32_e32 v16, v18                         // 000000006F30: 7E20B312
	s_nop 1                                                    // 000000006F34: BF800001
	v_permlane16_swap_b32_e32 v17, v19                         // 000000006F38: 7E22B313
	s_nop 1                                                    // 000000006F3C: BF800001
	buffer_store_dwordx4 v[16:19], v234, s[4:7], 0 offen       // 000000006F40: E07C1000 800110EA
	v_add_i32 v234, v234, 64                                   // 000000006F48: D29C00EA 000181EA
	s_addk_i32 s49, 0x1                                        // 000000006F50: B7310001
	s_cmp_lt_i32 s49, s50                                      // 000000006F54: BF043231
	s_cbranch_scc0 label_11A2                                  // 000000006F58: BF840045
	v_accvgpr_read_b32 v8, a156                                // 000000006F5C: D3D84008 1800019C
	v_accvgpr_read_b32 v9, a157                                // 000000006F64: D3D84009 1800019D
	v_accvgpr_read_b32 v10, a158                               // 000000006F6C: D3D8400A 1800019E
	v_accvgpr_read_b32 v11, a159                               // 000000006F74: D3D8400B 1800019F
	v_accvgpr_read_b32 v12, a188                               // 000000006F7C: D3D8400C 180001BC
	v_accvgpr_read_b32 v13, a189                               // 000000006F84: D3D8400D 180001BD
	v_accvgpr_read_b32 v14, a190                               // 000000006F8C: D3D8400E 180001BE
	v_accvgpr_read_b32 v15, a191                               // 000000006F94: D3D8400F 180001BF
	v_cvt_pk_bf16_f32 v16, v8, v9                              // 000000006F9C: D2680010 00021308
	v_cvt_pk_bf16_f32 v17, v10, v11                            // 000000006FA4: D2680011 0002170A
	v_cvt_pk_bf16_f32 v18, v12, v13                            // 000000006FAC: D2680012 00021B0C
	v_cvt_pk_bf16_f32 v19, v14, v15                            // 000000006FB4: D2680013 00021F0E
	s_nop 1                                                    // 000000006FBC: BF800001
	v_permlane16_swap_b32_e32 v16, v18                         // 000000006FC0: 7E20B312
	s_nop 1                                                    // 000000006FC4: BF800001
	v_permlane16_swap_b32_e32 v17, v19                         // 000000006FC8: 7E22B313
	s_nop 1                                                    // 000000006FCC: BF800001
	buffer_store_dwordx4 v[16:19], v235, s[4:7], 0 offen       // 000000006FD0: E07C1000 800110EB
	v_add_i32 v235, v235, 64                                   // 000000006FD8: D29C00EB 000181EB
	v_accvgpr_read_b32 v8, a220                                // 000000006FE0: D3D84008 180001DC
	v_accvgpr_read_b32 v9, a221                                // 000000006FE8: D3D84009 180001DD
	v_accvgpr_read_b32 v10, a222                               // 000000006FF0: D3D8400A 180001DE
	v_accvgpr_read_b32 v11, a223                               // 000000006FF8: D3D8400B 180001DF
	v_accvgpr_read_b32 v12, a252                               // 000000007000: D3D8400C 180001FC
	v_accvgpr_read_b32 v13, a253                               // 000000007008: D3D8400D 180001FD
	v_accvgpr_read_b32 v14, a254                               // 000000007010: D3D8400E 180001FE
	v_accvgpr_read_b32 v15, a255                               // 000000007018: D3D8400F 180001FF
	v_cvt_pk_bf16_f32 v16, v8, v9                              // 000000007020: D2680010 00021308
	v_cvt_pk_bf16_f32 v17, v10, v11                            // 000000007028: D2680011 0002170A
	v_cvt_pk_bf16_f32 v18, v12, v13                            // 000000007030: D2680012 00021B0C
	v_cvt_pk_bf16_f32 v19, v14, v15                            // 000000007038: D2680013 00021F0E
	s_nop 1                                                    // 000000007040: BF800001
	v_permlane16_swap_b32_e32 v16, v18                         // 000000007044: 7E20B312
	s_nop 1                                                    // 000000007048: BF800001
	v_permlane16_swap_b32_e32 v17, v19                         // 00000000704C: 7E22B313
	s_nop 1                                                    // 000000007050: BF800001
	buffer_store_dwordx4 v[16:19], v235, s[4:7], 0 offen       // 000000007054: E07C1000 800110EB
	v_add_i32 v235, v235, 64                                   // 00000000705C: D29C00EB 000181EB
	s_addk_i32 s49, 0x1                                        // 000000007064: B7310001
	s_cmp_lt_i32 s49, s50                                      // 000000007068: BF043231
	s_cbranch_scc0 label_11A2                                  // 00000000706C: BF840000

0000000000007070 <label_11A2>:
	s_waitcnt vmcnt(0) expcnt(0) lgkmcnt(0)                    // 000000007070: BF8C0000
	s_endpgm                                                   // 000000007074: BF810000
